;; amdgpu-corpus repo=ROCm/rocFFT kind=compiled arch=gfx1100 opt=O3
	.text
	.amdgcn_target "amdgcn-amd-amdhsa--gfx1100"
	.amdhsa_code_object_version 6
	.protected	fft_rtc_fwd_len289_factors_17_17_wgs_119_tpt_17_dp_op_CI_CI_sbcc_twdbase8_3step_dirReg_intrinsicRead ; -- Begin function fft_rtc_fwd_len289_factors_17_17_wgs_119_tpt_17_dp_op_CI_CI_sbcc_twdbase8_3step_dirReg_intrinsicRead
	.globl	fft_rtc_fwd_len289_factors_17_17_wgs_119_tpt_17_dp_op_CI_CI_sbcc_twdbase8_3step_dirReg_intrinsicRead
	.p2align	8
	.type	fft_rtc_fwd_len289_factors_17_17_wgs_119_tpt_17_dp_op_CI_CI_sbcc_twdbase8_3step_dirReg_intrinsicRead,@function
fft_rtc_fwd_len289_factors_17_17_wgs_119_tpt_17_dp_op_CI_CI_sbcc_twdbase8_3step_dirReg_intrinsicRead: ; @fft_rtc_fwd_len289_factors_17_17_wgs_119_tpt_17_dp_op_CI_CI_sbcc_twdbase8_3step_dirReg_intrinsicRead
; %bb.0:
	s_clause 0x1
	s_load_b128 s[16:19], s[0:1], 0x18
	s_load_b64 s[26:27], s[0:1], 0x28
	v_mov_b32_e32 v255, v0
	s_mov_b32 s28, s15
	s_mov_b32 s29, 0
	s_mov_b64 s[22:23], 0
	s_waitcnt lgkmcnt(0)
	s_load_b64 s[24:25], s[16:17], 0x8
	s_waitcnt lgkmcnt(0)
	s_add_u32 s2, s24, -1
	s_addc_u32 s3, s25, -1
	s_add_u32 s4, 0, 0x92481000
	s_addc_u32 s5, 0, 0x64
	s_mul_hi_u32 s7, s4, -7
	s_add_i32 s5, s5, 0x249248c0
	s_sub_i32 s7, s7, s4
	s_mul_i32 s9, s5, -7
	s_mul_i32 s6, s4, -7
	s_add_i32 s7, s7, s9
	s_mul_hi_u32 s8, s4, s6
	s_mul_i32 s11, s4, s7
	s_mul_hi_u32 s9, s4, s7
	s_mul_hi_u32 s10, s5, s6
	s_mul_i32 s6, s5, s6
	s_add_u32 s8, s8, s11
	s_addc_u32 s9, 0, s9
	s_mul_hi_u32 s12, s5, s7
	s_add_u32 s6, s8, s6
	s_mul_i32 s7, s5, s7
	s_addc_u32 s6, s9, s10
	s_addc_u32 s8, s12, 0
	s_add_u32 s6, s6, s7
	s_delay_alu instid0(SALU_CYCLE_1) | instskip(SKIP_3) | instid1(VALU_DEP_1)
	v_add_co_u32 v0, s4, s4, s6
	s_addc_u32 s6, 0, s8
	s_cmp_lg_u32 s4, 0
	s_addc_u32 s4, s5, s6
	v_readfirstlane_b32 s5, v0
	s_mul_i32 s7, s2, s4
	s_mul_hi_u32 s6, s2, s4
	s_mul_hi_u32 s8, s3, s4
	s_mul_i32 s4, s3, s4
	s_mul_hi_u32 s9, s2, s5
	s_mul_hi_u32 s10, s3, s5
	s_mul_i32 s5, s3, s5
	s_add_u32 s7, s9, s7
	s_addc_u32 s6, 0, s6
	s_add_u32 s5, s7, s5
	s_addc_u32 s5, s6, s10
	s_addc_u32 s6, s8, 0
	s_add_u32 s4, s5, s4
	s_addc_u32 s5, 0, s6
	s_mul_i32 s7, s4, 7
	s_add_u32 s6, s4, 1
	v_sub_co_u32 v0, s2, s2, s7
	s_mul_hi_u32 s7, s4, 7
	s_addc_u32 s8, s5, 0
	s_mul_i32 s9, s5, 7
	s_delay_alu instid0(VALU_DEP_1)
	v_sub_co_u32 v1, s10, v0, 7
	s_add_u32 s11, s4, 2
	s_addc_u32 s12, s5, 0
	s_add_i32 s7, s7, s9
	s_cmp_lg_u32 s2, 0
	v_readfirstlane_b32 s2, v1
	s_subb_u32 s3, s3, s7
	s_cmp_lg_u32 s10, 0
	s_subb_u32 s7, s3, 0
	s_delay_alu instid0(VALU_DEP_1) | instskip(SKIP_4) | instid1(SALU_CYCLE_1)
	s_cmp_gt_u32 s2, 6
	s_cselect_b32 s2, -1, 0
	s_cmp_eq_u32 s7, 0
	v_readfirstlane_b32 s7, v0
	s_cselect_b32 s2, s2, -1
	s_cmp_lg_u32 s2, 0
	s_cselect_b32 s2, s11, s6
	s_cselect_b32 s6, s12, s8
	s_cmp_gt_u32 s7, 6
	s_cselect_b32 s7, -1, 0
	s_cmp_eq_u32 s3, 0
	s_cselect_b32 s3, s7, -1
	s_delay_alu instid0(SALU_CYCLE_1) | instskip(SKIP_4) | instid1(SALU_CYCLE_1)
	s_cmp_lg_u32 s3, 0
	s_cselect_b32 s2, s2, s4
	s_cselect_b32 s3, s6, s5
	s_add_u32 s30, s2, 1
	s_addc_u32 s31, s3, 0
	v_cmp_lt_u64_e64 s2, s[28:29], s[30:31]
	s_delay_alu instid0(VALU_DEP_1)
	s_and_b32 vcc_lo, exec_lo, s2
	s_cbranch_vccnz .LBB0_2
; %bb.1:
	v_cvt_f32_u32_e32 v0, s30
	s_sub_i32 s3, 0, s30
	s_mov_b32 s23, s29
	s_delay_alu instid0(VALU_DEP_1) | instskip(SKIP_2) | instid1(VALU_DEP_1)
	v_rcp_iflag_f32_e32 v0, v0
	s_waitcnt_depctr 0xfff
	v_mul_f32_e32 v0, 0x4f7ffffe, v0
	v_cvt_u32_f32_e32 v0, v0
	s_delay_alu instid0(VALU_DEP_1) | instskip(NEXT) | instid1(VALU_DEP_1)
	v_readfirstlane_b32 s2, v0
	s_mul_i32 s3, s3, s2
	s_delay_alu instid0(SALU_CYCLE_1) | instskip(NEXT) | instid1(SALU_CYCLE_1)
	s_mul_hi_u32 s3, s2, s3
	s_add_i32 s2, s2, s3
	s_delay_alu instid0(SALU_CYCLE_1) | instskip(NEXT) | instid1(SALU_CYCLE_1)
	s_mul_hi_u32 s2, s28, s2
	s_mul_i32 s3, s2, s30
	s_add_i32 s4, s2, 1
	s_sub_i32 s3, s28, s3
	s_delay_alu instid0(SALU_CYCLE_1)
	s_sub_i32 s5, s3, s30
	s_cmp_ge_u32 s3, s30
	s_cselect_b32 s2, s4, s2
	s_cselect_b32 s3, s5, s3
	s_add_i32 s4, s2, 1
	s_cmp_ge_u32 s3, s30
	s_cselect_b32 s22, s4, s2
.LBB0_2:
	s_load_b128 s[12:15], s[18:19], 0x0
	s_load_b128 s[4:7], s[26:27], 0x0
	s_clause 0x1
	s_load_b128 s[8:11], s[0:1], 0x8
	s_load_b64 s[62:63], s[0:1], 0x0
	s_mul_i32 s2, s22, s31
	s_mul_hi_u32 s3, s22, s30
	s_waitcnt lgkmcnt(0)
	s_mul_i32 s13, s22, s30
	s_add_i32 s3, s3, s2
	s_sub_u32 s33, s28, s13
	s_subb_u32 s2, 0, s3
	s_mul_hi_u32 s13, s33, 7
	s_mul_i32 s20, s2, 7
	s_load_b128 s[0:3], s[0:1], 0x60
	s_add_i32 s13, s13, s20
	s_mul_i32 s33, s33, 7
	s_mul_i32 s20, s14, s13
	s_mul_hi_u32 s21, s14, s33
	v_cmp_lt_u64_e64 s38, s[10:11], 3
	s_mul_i32 s35, s6, s13
	s_mul_hi_u32 s36, s6, s33
	s_mul_i32 s34, s15, s33
	s_mul_i32 s37, s7, s33
	s_add_i32 s20, s21, s20
	s_add_i32 s21, s36, s35
	;; [unrolled: 1-line block ×3, first 2 shown]
	s_mul_i32 s46, s14, s33
	s_add_i32 s21, s21, s37
	s_and_b32 vcc_lo, exec_lo, s38
	s_mul_i32 s20, s6, s33
	s_cbranch_vccnz .LBB0_12
; %bb.3:
	s_add_u32 s34, s26, 16
	s_addc_u32 s35, s27, 0
	s_add_u32 s36, s18, 16
	s_addc_u32 s37, s19, 0
	;; [unrolled: 2-line block ×3, first 2 shown]
	s_mov_b64 s[38:39], 2
	s_mov_b32 s40, 0
.LBB0_4:                                ; =>This Inner Loop Header: Depth=1
	s_load_b64 s[42:43], s[16:17], 0x0
	s_waitcnt lgkmcnt(0)
	s_or_b64 s[44:45], s[22:23], s[42:43]
	s_delay_alu instid0(SALU_CYCLE_1) | instskip(NEXT) | instid1(SALU_CYCLE_1)
	s_mov_b32 s41, s45
                                        ; implicit-def: $sgpr44_sgpr45
	s_cmp_lg_u64 s[40:41], 0
	s_mov_b32 s41, -1
	s_cbranch_scc0 .LBB0_6
; %bb.5:                                ;   in Loop: Header=BB0_4 Depth=1
	v_cvt_f32_u32_e32 v0, s42
	v_cvt_f32_u32_e32 v1, s43
	s_sub_u32 s45, 0, s42
	s_subb_u32 s48, 0, s43
	s_delay_alu instid0(VALU_DEP_1) | instskip(NEXT) | instid1(VALU_DEP_1)
	v_fmac_f32_e32 v0, 0x4f800000, v1
	v_rcp_f32_e32 v0, v0
	s_waitcnt_depctr 0xfff
	v_mul_f32_e32 v0, 0x5f7ffffc, v0
	s_delay_alu instid0(VALU_DEP_1) | instskip(NEXT) | instid1(VALU_DEP_1)
	v_mul_f32_e32 v1, 0x2f800000, v0
	v_trunc_f32_e32 v1, v1
	s_delay_alu instid0(VALU_DEP_1) | instskip(SKIP_1) | instid1(VALU_DEP_2)
	v_fmac_f32_e32 v0, 0xcf800000, v1
	v_cvt_u32_f32_e32 v1, v1
	v_cvt_u32_f32_e32 v0, v0
	s_delay_alu instid0(VALU_DEP_2) | instskip(NEXT) | instid1(VALU_DEP_2)
	v_readfirstlane_b32 s41, v1
	v_readfirstlane_b32 s44, v0
	s_delay_alu instid0(VALU_DEP_2) | instskip(NEXT) | instid1(VALU_DEP_1)
	s_mul_i32 s49, s45, s41
	s_mul_hi_u32 s51, s45, s44
	s_mul_i32 s50, s48, s44
	s_add_i32 s49, s51, s49
	s_mul_i32 s52, s45, s44
	s_add_i32 s49, s49, s50
	s_mul_hi_u32 s51, s44, s52
	s_mul_hi_u32 s53, s41, s52
	s_mul_i32 s50, s41, s52
	s_mul_hi_u32 s52, s44, s49
	s_mul_i32 s44, s44, s49
	s_mul_hi_u32 s54, s41, s49
	s_add_u32 s44, s51, s44
	s_addc_u32 s51, 0, s52
	s_add_u32 s44, s44, s50
	s_mul_i32 s49, s41, s49
	s_addc_u32 s44, s51, s53
	s_addc_u32 s50, s54, 0
	s_add_u32 s44, s44, s49
	s_addc_u32 s49, 0, s50
	v_add_co_u32 v0, s44, v0, s44
	s_delay_alu instid0(VALU_DEP_1) | instskip(SKIP_1) | instid1(VALU_DEP_1)
	s_cmp_lg_u32 s44, 0
	s_addc_u32 s41, s41, s49
	v_readfirstlane_b32 s44, v0
	s_mul_i32 s49, s45, s41
	s_delay_alu instid0(VALU_DEP_1)
	s_mul_hi_u32 s50, s45, s44
	s_mul_i32 s48, s48, s44
	s_add_i32 s49, s50, s49
	s_mul_i32 s45, s45, s44
	s_add_i32 s49, s49, s48
	s_mul_hi_u32 s50, s41, s45
	s_mul_i32 s51, s41, s45
	s_mul_hi_u32 s45, s44, s45
	s_mul_hi_u32 s52, s44, s49
	s_mul_i32 s44, s44, s49
	s_mul_hi_u32 s48, s41, s49
	s_add_u32 s44, s45, s44
	s_addc_u32 s45, 0, s52
	s_add_u32 s44, s44, s51
	s_mul_i32 s49, s41, s49
	s_addc_u32 s44, s45, s50
	s_addc_u32 s45, s48, 0
	s_add_u32 s44, s44, s49
	s_addc_u32 s45, 0, s45
	v_add_co_u32 v0, s44, v0, s44
	s_delay_alu instid0(VALU_DEP_1) | instskip(SKIP_1) | instid1(VALU_DEP_1)
	s_cmp_lg_u32 s44, 0
	s_addc_u32 s41, s41, s45
	v_readfirstlane_b32 s44, v0
	s_mul_i32 s48, s22, s41
	s_mul_hi_u32 s45, s22, s41
	s_mul_hi_u32 s49, s23, s41
	s_mul_i32 s41, s23, s41
	s_mul_hi_u32 s50, s22, s44
	s_mul_hi_u32 s51, s23, s44
	s_mul_i32 s44, s23, s44
	s_add_u32 s48, s50, s48
	s_addc_u32 s45, 0, s45
	s_add_u32 s44, s48, s44
	s_addc_u32 s44, s45, s51
	s_addc_u32 s45, s49, 0
	s_add_u32 s44, s44, s41
	s_addc_u32 s45, 0, s45
	s_mul_hi_u32 s41, s42, s44
	s_mul_i32 s49, s42, s45
	s_mul_i32 s50, s42, s44
	s_add_i32 s41, s41, s49
	v_sub_co_u32 v0, s49, s22, s50
	s_mul_i32 s48, s43, s44
	s_delay_alu instid0(SALU_CYCLE_1) | instskip(NEXT) | instid1(VALU_DEP_1)
	s_add_i32 s41, s41, s48
	v_sub_co_u32 v1, s50, v0, s42
	s_sub_i32 s48, s23, s41
	s_cmp_lg_u32 s49, 0
	s_subb_u32 s48, s48, s43
	s_cmp_lg_u32 s50, 0
	v_readfirstlane_b32 s50, v1
	s_subb_u32 s48, s48, 0
	s_delay_alu instid0(SALU_CYCLE_1) | instskip(SKIP_1) | instid1(VALU_DEP_1)
	s_cmp_ge_u32 s48, s43
	s_cselect_b32 s51, -1, 0
	s_cmp_ge_u32 s50, s42
	s_cselect_b32 s50, -1, 0
	s_cmp_eq_u32 s48, s43
	s_cselect_b32 s48, s50, s51
	s_add_u32 s50, s44, 1
	s_addc_u32 s51, s45, 0
	s_add_u32 s52, s44, 2
	s_addc_u32 s53, s45, 0
	s_cmp_lg_u32 s48, 0
	s_cselect_b32 s48, s52, s50
	s_cselect_b32 s50, s53, s51
	s_cmp_lg_u32 s49, 0
	v_readfirstlane_b32 s49, v0
	s_subb_u32 s41, s23, s41
	s_delay_alu instid0(SALU_CYCLE_1) | instskip(SKIP_1) | instid1(VALU_DEP_1)
	s_cmp_ge_u32 s41, s43
	s_cselect_b32 s51, -1, 0
	s_cmp_ge_u32 s49, s42
	s_cselect_b32 s49, -1, 0
	s_cmp_eq_u32 s41, s43
	s_cselect_b32 s41, s49, s51
	s_delay_alu instid0(SALU_CYCLE_1)
	s_cmp_lg_u32 s41, 0
	s_mov_b32 s41, 0
	s_cselect_b32 s45, s50, s45
	s_cselect_b32 s44, s48, s44
.LBB0_6:                                ;   in Loop: Header=BB0_4 Depth=1
	s_and_not1_b32 vcc_lo, exec_lo, s41
	s_cbranch_vccnz .LBB0_8
; %bb.7:                                ;   in Loop: Header=BB0_4 Depth=1
	v_cvt_f32_u32_e32 v0, s42
	s_sub_i32 s44, 0, s42
	s_waitcnt_depctr 0xfff
	v_rcp_iflag_f32_e32 v0, v0
	s_waitcnt_depctr 0xfff
	v_mul_f32_e32 v0, 0x4f7ffffe, v0
	s_delay_alu instid0(VALU_DEP_1) | instskip(NEXT) | instid1(VALU_DEP_1)
	v_cvt_u32_f32_e32 v0, v0
	v_readfirstlane_b32 s41, v0
	s_delay_alu instid0(VALU_DEP_1) | instskip(NEXT) | instid1(SALU_CYCLE_1)
	s_mul_i32 s44, s44, s41
	s_mul_hi_u32 s44, s41, s44
	s_delay_alu instid0(SALU_CYCLE_1) | instskip(NEXT) | instid1(SALU_CYCLE_1)
	s_add_i32 s41, s41, s44
	s_mul_hi_u32 s41, s22, s41
	s_delay_alu instid0(SALU_CYCLE_1) | instskip(SKIP_2) | instid1(SALU_CYCLE_1)
	s_mul_i32 s44, s41, s42
	s_add_i32 s45, s41, 1
	s_sub_i32 s44, s22, s44
	s_sub_i32 s48, s44, s42
	s_cmp_ge_u32 s44, s42
	s_cselect_b32 s41, s45, s41
	s_cselect_b32 s44, s48, s44
	s_add_i32 s45, s41, 1
	s_cmp_ge_u32 s44, s42
	s_cselect_b32 s44, s45, s41
	s_mov_b32 s45, s40
.LBB0_8:                                ;   in Loop: Header=BB0_4 Depth=1
	s_load_b64 s[48:49], s[36:37], 0x0
	s_load_b64 s[50:51], s[34:35], 0x0
	s_mul_i32 s31, s42, s31
	s_mul_hi_u32 s41, s42, s30
	s_mul_i32 s52, s43, s30
	s_mul_i32 s43, s44, s43
	s_mul_hi_u32 s53, s44, s42
	s_mul_i32 s54, s45, s42
	s_add_i32 s31, s41, s31
	s_add_i32 s41, s53, s43
	s_mul_i32 s55, s44, s42
	s_add_i32 s31, s31, s52
	s_add_i32 s41, s41, s54
	s_sub_u32 s22, s22, s55
	s_subb_u32 s23, s23, s41
	s_mul_i32 s30, s42, s30
	s_waitcnt lgkmcnt(0)
	s_mul_i32 s41, s48, s23
	s_mul_hi_u32 s43, s48, s22
	s_mul_i32 s49, s49, s22
	s_add_i32 s41, s43, s41
	s_mul_i32 s48, s48, s22
	s_mul_i32 s23, s50, s23
	s_mul_hi_u32 s43, s50, s22
	s_add_i32 s41, s41, s49
	s_add_u32 s46, s48, s46
	s_addc_u32 s47, s41, s47
	s_add_i32 s23, s43, s23
	s_mul_i32 s41, s51, s22
	s_mul_i32 s22, s50, s22
	s_add_i32 s23, s23, s41
	s_add_u32 s20, s22, s20
	s_addc_u32 s21, s23, s21
	s_add_u32 s38, s38, 1
	s_addc_u32 s39, s39, 0
	s_add_u32 s34, s34, 8
	v_cmp_ge_u64_e64 s22, s[38:39], s[10:11]
	s_addc_u32 s35, s35, 0
	s_add_u32 s36, s36, 8
	s_addc_u32 s37, s37, 0
	s_add_u32 s16, s16, 8
	s_addc_u32 s17, s17, 0
	s_and_b32 vcc_lo, exec_lo, s22
	s_cbranch_vccnz .LBB0_10
; %bb.9:                                ;   in Loop: Header=BB0_4 Depth=1
	s_mov_b64 s[22:23], s[44:45]
	s_branch .LBB0_4
.LBB0_10:
	v_cmp_lt_u64_e64 s16, s[28:29], s[30:31]
	s_mov_b64 s[22:23], 0
	s_delay_alu instid0(VALU_DEP_1)
	s_and_b32 vcc_lo, exec_lo, s16
	s_cbranch_vccnz .LBB0_12
; %bb.11:
	v_cvt_f32_u32_e32 v0, s30
	s_sub_i32 s17, 0, s30
	s_delay_alu instid0(VALU_DEP_1) | instskip(SKIP_2) | instid1(VALU_DEP_1)
	v_rcp_iflag_f32_e32 v0, v0
	s_waitcnt_depctr 0xfff
	v_mul_f32_e32 v0, 0x4f7ffffe, v0
	v_cvt_u32_f32_e32 v0, v0
	s_delay_alu instid0(VALU_DEP_1) | instskip(NEXT) | instid1(VALU_DEP_1)
	v_readfirstlane_b32 s16, v0
	s_mul_i32 s17, s17, s16
	s_delay_alu instid0(SALU_CYCLE_1) | instskip(NEXT) | instid1(SALU_CYCLE_1)
	s_mul_hi_u32 s17, s16, s17
	s_add_i32 s16, s16, s17
	s_delay_alu instid0(SALU_CYCLE_1) | instskip(NEXT) | instid1(SALU_CYCLE_1)
	s_mul_hi_u32 s16, s28, s16
	s_mul_i32 s17, s16, s30
	s_add_i32 s22, s16, 1
	s_sub_i32 s17, s28, s17
	s_delay_alu instid0(SALU_CYCLE_1)
	s_sub_i32 s23, s17, s30
	s_cmp_ge_u32 s17, s30
	s_cselect_b32 s16, s22, s16
	s_cselect_b32 s17, s23, s17
	s_add_i32 s22, s16, 1
	s_cmp_ge_u32 s17, s30
	s_cselect_b32 s22, s22, s16
.LBB0_12:
	v_mul_u32_u24_e32 v0, 0x2493, v255
	s_lshl_b64 s[16:17], s[10:11], 3
	v_mov_b32_e32 v7, 0
	s_add_u32 s10, s18, s16
	s_addc_u32 s11, s19, s17
	v_lshrrev_b32_e32 v190, 16, v0
	s_load_b64 s[10:11], s[10:11], 0x0
	v_mov_b32_e32 v8, 0
	s_delay_alu instid0(VALU_DEP_2) | instskip(NEXT) | instid1(VALU_DEP_1)
	v_mul_lo_u16 v0, v190, 7
	v_sub_nc_u16 v0, v255, v0
	s_delay_alu instid0(VALU_DEP_1) | instskip(NEXT) | instid1(VALU_DEP_1)
	v_and_b32_e32 v0, 0xffff, v0
	v_mad_u64_u32 v[71:72], null, s14, v0, 0
	s_waitcnt lgkmcnt(0)
	s_mul_i32 s10, s10, s22
	s_delay_alu instid0(SALU_CYCLE_1) | instskip(SKIP_3) | instid1(VALU_DEP_1)
	s_add_u32 s10, s10, s46
	s_add_u32 s64, s26, s16
	s_addc_u32 s65, s27, s17
	s_add_u32 s16, s33, 7
	v_mov_b32_e32 v1, v72
	v_add_co_u32 v69, s11, s33, v0
	s_delay_alu instid0(VALU_DEP_1) | instskip(SKIP_1) | instid1(VALU_DEP_3)
	v_add_co_ci_u32_e64 v70, null, s13, 0, s11
	s_addc_u32 s17, s13, 0
	v_mad_u64_u32 v[2:3], null, s15, v0, v[1:2]
	v_cmp_le_u64_e64 s11, s[16:17], s[24:25]
	s_delay_alu instid0(VALU_DEP_3) | instskip(SKIP_4) | instid1(SALU_CYCLE_1)
	v_cmp_gt_u64_e32 vcc_lo, s[24:25], v[69:70]
	v_dual_mov_b32 v3, v7 :: v_dual_mov_b32 v4, v8
	v_dual_mov_b32 v1, v7 :: v_dual_mov_b32 v2, v8
	scratch_store_b32 off, v0, off          ; 4-byte Folded Spill
	s_or_b32 s23, s11, vcc_lo
	s_and_saveexec_b32 s11, s23
	s_cbranch_execz .LBB0_14
; %bb.13:
	v_mul_lo_u32 v0, s12, v190
	v_mov_b32_e32 v2, 0
	s_delay_alu instid0(VALU_DEP_2) | instskip(NEXT) | instid1(VALU_DEP_1)
	v_add3_u32 v1, s10, v71, v0
	v_lshlrev_b64 v[1:2], 4, v[1:2]
	s_delay_alu instid0(VALU_DEP_1) | instskip(NEXT) | instid1(VALU_DEP_2)
	v_add_co_u32 v1, vcc_lo, s0, v1
	v_add_co_ci_u32_e32 v2, vcc_lo, s1, v2, vcc_lo
	global_load_b128 v[1:4], v[1:2], off
.LBB0_14:
	s_or_b32 exec_lo, exec_lo, s11
	v_dual_mov_b32 v5, v7 :: v_dual_mov_b32 v6, v8
	s_and_saveexec_b32 s11, s23
	s_cbranch_execz .LBB0_16
; %bb.15:
	v_add_nc_u32_e32 v0, 17, v190
	v_mov_b32_e32 v6, 0
	s_delay_alu instid0(VALU_DEP_2) | instskip(NEXT) | instid1(VALU_DEP_1)
	v_mul_lo_u32 v0, s12, v0
	v_add3_u32 v5, s10, v71, v0
	s_delay_alu instid0(VALU_DEP_1) | instskip(NEXT) | instid1(VALU_DEP_1)
	v_lshlrev_b64 v[5:6], 4, v[5:6]
	v_add_co_u32 v5, vcc_lo, s0, v5
	s_delay_alu instid0(VALU_DEP_2)
	v_add_co_ci_u32_e32 v6, vcc_lo, s1, v6, vcc_lo
	global_load_b128 v[5:8], v[5:6], off
.LBB0_16:
	s_or_b32 exec_lo, exec_lo, s11
	v_mov_b32_e32 v15, 0
	v_mov_b32_e32 v16, 0
	s_delay_alu instid0(VALU_DEP_2) | instskip(NEXT) | instid1(VALU_DEP_2)
	v_mov_b32_e32 v11, v15
	v_dual_mov_b32 v9, v15 :: v_dual_mov_b32 v10, v16
	v_mov_b32_e32 v12, v16
	s_and_saveexec_b32 s11, s23
	s_cbranch_execz .LBB0_18
; %bb.17:
	v_add_nc_u32_e32 v0, 34, v190
	v_mov_b32_e32 v10, 0
	s_delay_alu instid0(VALU_DEP_2) | instskip(NEXT) | instid1(VALU_DEP_1)
	v_mul_lo_u32 v0, s12, v0
	v_add3_u32 v9, s10, v71, v0
	s_delay_alu instid0(VALU_DEP_1) | instskip(NEXT) | instid1(VALU_DEP_1)
	v_lshlrev_b64 v[9:10], 4, v[9:10]
	v_add_co_u32 v9, vcc_lo, s0, v9
	s_delay_alu instid0(VALU_DEP_2)
	v_add_co_ci_u32_e32 v10, vcc_lo, s1, v10, vcc_lo
	global_load_b128 v[9:12], v[9:10], off
.LBB0_18:
	s_or_b32 exec_lo, exec_lo, s11
	v_dual_mov_b32 v13, v15 :: v_dual_mov_b32 v14, v16
	s_and_saveexec_b32 s11, s23
	s_cbranch_execz .LBB0_20
; %bb.19:
	v_add_nc_u32_e32 v0, 51, v190
	v_mov_b32_e32 v14, 0
	s_delay_alu instid0(VALU_DEP_2) | instskip(NEXT) | instid1(VALU_DEP_1)
	v_mul_lo_u32 v0, s12, v0
	v_add3_u32 v13, s10, v71, v0
	s_delay_alu instid0(VALU_DEP_1) | instskip(NEXT) | instid1(VALU_DEP_1)
	v_lshlrev_b64 v[13:14], 4, v[13:14]
	v_add_co_u32 v13, vcc_lo, s0, v13
	s_delay_alu instid0(VALU_DEP_2)
	v_add_co_ci_u32_e32 v14, vcc_lo, s1, v14, vcc_lo
	global_load_b128 v[13:16], v[13:14], off
.LBB0_20:
	s_or_b32 exec_lo, exec_lo, s11
	v_mov_b32_e32 v23, 0
	v_mov_b32_e32 v24, 0
	s_delay_alu instid0(VALU_DEP_2) | instskip(NEXT) | instid1(VALU_DEP_2)
	v_mov_b32_e32 v19, v23
	v_dual_mov_b32 v17, v23 :: v_dual_mov_b32 v18, v24
	v_mov_b32_e32 v20, v24
	s_and_saveexec_b32 s11, s23
	s_cbranch_execz .LBB0_22
; %bb.21:
	v_add_nc_u32_e32 v0, 0x44, v190
	v_mov_b32_e32 v18, 0
	s_delay_alu instid0(VALU_DEP_2) | instskip(NEXT) | instid1(VALU_DEP_1)
	v_mul_lo_u32 v0, s12, v0
	v_add3_u32 v17, s10, v71, v0
	s_delay_alu instid0(VALU_DEP_1) | instskip(NEXT) | instid1(VALU_DEP_1)
	v_lshlrev_b64 v[17:18], 4, v[17:18]
	v_add_co_u32 v17, vcc_lo, s0, v17
	s_delay_alu instid0(VALU_DEP_2)
	v_add_co_ci_u32_e32 v18, vcc_lo, s1, v18, vcc_lo
	global_load_b128 v[17:20], v[17:18], off
.LBB0_22:
	;; [unrolled: 39-line block ×3, first 2 shown]
	s_or_b32 exec_lo, exec_lo, s11
	v_dual_mov_b32 v29, v31 :: v_dual_mov_b32 v30, v32
	s_and_saveexec_b32 s11, s23
	s_cbranch_execz .LBB0_28
; %bb.27:
	v_add_nc_u32_e32 v0, 0x77, v190
	v_mov_b32_e32 v30, 0
	s_delay_alu instid0(VALU_DEP_2) | instskip(NEXT) | instid1(VALU_DEP_1)
	v_mul_lo_u32 v0, s12, v0
	v_add3_u32 v29, s10, v71, v0
	s_delay_alu instid0(VALU_DEP_1) | instskip(NEXT) | instid1(VALU_DEP_1)
	v_lshlrev_b64 v[29:30], 4, v[29:30]
	v_add_co_u32 v29, vcc_lo, s0, v29
	s_delay_alu instid0(VALU_DEP_2)
	v_add_co_ci_u32_e32 v30, vcc_lo, s1, v30, vcc_lo
	global_load_b128 v[29:32], v[29:30], off
.LBB0_28:
	s_or_b32 exec_lo, exec_lo, s11
	v_mov_b32_e32 v35, 0
	v_mov_b32_e32 v36, 0
	s_delay_alu instid0(VALU_DEP_1)
	v_dual_mov_b32 v40, v36 :: v_dual_mov_b32 v39, v35
	v_dual_mov_b32 v38, v36 :: v_dual_mov_b32 v37, v35
	s_and_saveexec_b32 s11, s23
	s_cbranch_execz .LBB0_30
; %bb.29:
	v_add_nc_u32_e32 v0, 0x88, v190
	v_mov_b32_e32 v34, 0
	s_delay_alu instid0(VALU_DEP_2) | instskip(NEXT) | instid1(VALU_DEP_1)
	v_mul_lo_u32 v0, s12, v0
	v_add3_u32 v33, s10, v71, v0
	s_delay_alu instid0(VALU_DEP_1) | instskip(NEXT) | instid1(VALU_DEP_1)
	v_lshlrev_b64 v[33:34], 4, v[33:34]
	v_add_co_u32 v33, vcc_lo, s0, v33
	s_delay_alu instid0(VALU_DEP_2)
	v_add_co_ci_u32_e32 v34, vcc_lo, s1, v34, vcc_lo
	global_load_b128 v[37:40], v[33:34], off
.LBB0_30:
	s_or_b32 exec_lo, exec_lo, s11
	v_dual_mov_b32 v33, v35 :: v_dual_mov_b32 v34, v36
	s_and_saveexec_b32 s11, s23
	s_cbranch_execz .LBB0_32
; %bb.31:
	v_add_nc_u32_e32 v0, 0x99, v190
	v_mov_b32_e32 v34, 0
	s_delay_alu instid0(VALU_DEP_2) | instskip(NEXT) | instid1(VALU_DEP_1)
	v_mul_lo_u32 v0, s12, v0
	v_add3_u32 v33, s10, v71, v0
	s_delay_alu instid0(VALU_DEP_1) | instskip(NEXT) | instid1(VALU_DEP_1)
	v_lshlrev_b64 v[33:34], 4, v[33:34]
	v_add_co_u32 v33, vcc_lo, s0, v33
	s_delay_alu instid0(VALU_DEP_2)
	v_add_co_ci_u32_e32 v34, vcc_lo, s1, v34, vcc_lo
	global_load_b128 v[33:36], v[33:34], off
.LBB0_32:
	s_or_b32 exec_lo, exec_lo, s11
	v_mov_b32_e32 v43, 0
	v_mov_b32_e32 v44, 0
	s_delay_alu instid0(VALU_DEP_1)
	v_dual_mov_b32 v48, v44 :: v_dual_mov_b32 v47, v43
	v_dual_mov_b32 v46, v44 :: v_dual_mov_b32 v45, v43
	s_and_saveexec_b32 s11, s23
	s_cbranch_execz .LBB0_34
; %bb.33:
	v_add_nc_u32_e32 v0, 0xaa, v190
	v_mov_b32_e32 v42, 0
	s_delay_alu instid0(VALU_DEP_2) | instskip(NEXT) | instid1(VALU_DEP_1)
	v_mul_lo_u32 v0, s12, v0
	v_add3_u32 v41, s10, v71, v0
	s_delay_alu instid0(VALU_DEP_1) | instskip(NEXT) | instid1(VALU_DEP_1)
	v_lshlrev_b64 v[41:42], 4, v[41:42]
	v_add_co_u32 v41, vcc_lo, s0, v41
	s_delay_alu instid0(VALU_DEP_2)
	v_add_co_ci_u32_e32 v42, vcc_lo, s1, v42, vcc_lo
	global_load_b128 v[45:48], v[41:42], off
.LBB0_34:
	;; [unrolled: 38-line block ×4, first 2 shown]
	s_or_b32 exec_lo, exec_lo, s11
	v_dual_mov_b32 v57, v59 :: v_dual_mov_b32 v58, v60
	s_and_saveexec_b32 s11, s23
	s_cbranch_execz .LBB0_44
; %bb.43:
	v_add_nc_u32_e32 v0, 0xff, v190
	v_mov_b32_e32 v58, 0
	s_delay_alu instid0(VALU_DEP_2) | instskip(NEXT) | instid1(VALU_DEP_1)
	v_mul_lo_u32 v0, s12, v0
	v_add3_u32 v57, s10, v71, v0
	s_delay_alu instid0(VALU_DEP_1) | instskip(NEXT) | instid1(VALU_DEP_1)
	v_lshlrev_b64 v[57:58], 4, v[57:58]
	v_add_co_u32 v57, vcc_lo, s0, v57
	s_delay_alu instid0(VALU_DEP_2)
	v_add_co_ci_u32_e32 v58, vcc_lo, s1, v58, vcc_lo
	global_load_b128 v[57:60], v[57:58], off
.LBB0_44:
	s_or_b32 exec_lo, exec_lo, s11
	v_mov_b32_e32 v67, 0
	v_mov_b32_e32 v68, 0
	s_delay_alu instid0(VALU_DEP_1)
	v_dual_mov_b32 v65, v67 :: v_dual_mov_b32 v66, v68
	s_and_saveexec_b32 s11, s23
	s_cbranch_execz .LBB0_46
; %bb.45:
	v_add_nc_u32_e32 v0, 0x110, v190
	v_mov_b32_e32 v66, 0
	s_delay_alu instid0(VALU_DEP_2) | instskip(NEXT) | instid1(VALU_DEP_1)
	v_mul_lo_u32 v0, s12, v0
	v_add3_u32 v65, s10, v71, v0
	s_delay_alu instid0(VALU_DEP_1) | instskip(NEXT) | instid1(VALU_DEP_1)
	v_lshlrev_b64 v[65:66], 4, v[65:66]
	v_add_co_u32 v65, vcc_lo, s0, v65
	s_delay_alu instid0(VALU_DEP_2)
	v_add_co_ci_u32_e32 v66, vcc_lo, s1, v66, vcc_lo
	global_load_b128 v[65:68], v[65:66], off
.LBB0_46:
	s_or_b32 exec_lo, exec_lo, s11
	s_waitcnt vmcnt(0)
	v_add_f64 v[70:71], v[1:2], v[5:6]
	v_add_f64 v[72:73], v[3:4], v[7:8]
	;; [unrolled: 1-line block ×3, first 2 shown]
	v_add_f64 v[130:131], v[37:38], -v[33:34]
	v_add_f64 v[136:137], v[29:30], v[45:46]
	v_add_f64 v[134:135], v[29:30], -v[45:46]
	v_add_f64 v[140:141], v[25:26], v[41:42]
	;; [unrolled: 2-line block ×6, first 2 shown]
	v_add_f64 v[180:181], v[9:10], -v[57:58]
	s_mov_b32 s18, 0x370991
	s_mov_b32 s24, 0x75d4884
	;; [unrolled: 1-line block ×22, first 2 shown]
	v_add_f64 v[70:71], v[70:71], v[9:10]
	v_add_f64 v[72:73], v[72:73], v[11:12]
	s_mov_b32 s52, 0x4363dd80
	s_mov_b32 s56, 0xacd6c6b4
	;; [unrolled: 1-line block ×26, first 2 shown]
	v_mul_f64 v[110:111], v[154:155], s[0:1]
	v_mul_f64 v[112:113], v[150:151], s[34:35]
	;; [unrolled: 1-line block ×10, first 2 shown]
	v_add_f64 v[70:71], v[70:71], v[13:14]
	v_add_f64 v[72:73], v[72:73], v[15:16]
	v_mul_f64 v[146:147], v[182:183], s[12:13]
	v_mul_f64 v[156:157], v[174:175], s[56:57]
	;; [unrolled: 1-line block ×31, first 2 shown]
	s_load_b64 s[64:65], s[64:65], 0x0
	v_add_f64 v[70:71], v[70:71], v[17:18]
	v_add_f64 v[72:73], v[72:73], v[19:20]
	s_delay_alu instid0(VALU_DEP_2) | instskip(NEXT) | instid1(VALU_DEP_2)
	v_add_f64 v[70:71], v[70:71], v[21:22]
	v_add_f64 v[72:73], v[72:73], v[23:24]
	s_delay_alu instid0(VALU_DEP_2) | instskip(NEXT) | instid1(VALU_DEP_2)
	;; [unrolled: 3-line block ×3, first 2 shown]
	v_add_f64 v[70:71], v[70:71], v[29:30]
	v_add_f64 v[74:75], v[72:73], v[31:32]
	v_add_f64 v[29:30], v[31:32], -v[47:48]
	s_delay_alu instid0(VALU_DEP_3) | instskip(NEXT) | instid1(VALU_DEP_3)
	v_add_f64 v[72:73], v[70:71], v[37:38]
	v_add_f64 v[74:75], v[74:75], v[39:40]
	;; [unrolled: 1-line block ×3, first 2 shown]
	v_add_f64 v[37:38], v[39:40], -v[35:36]
	s_delay_alu instid0(VALU_DEP_4) | instskip(NEXT) | instid1(VALU_DEP_4)
	v_add_f64 v[39:40], v[72:73], v[33:34]
	v_add_f64 v[35:36], v[74:75], v[35:36]
	v_add_f64 v[33:34], v[31:32], v[47:48]
	v_add_f64 v[31:32], v[27:28], v[43:44]
	s_delay_alu instid0(VALU_DEP_4) | instskip(NEXT) | instid1(VALU_DEP_4)
	v_add_f64 v[39:40], v[39:40], v[45:46]
	v_add_f64 v[45:46], v[35:36], v[47:48]
	v_add_f64 v[35:36], v[27:28], -v[43:44]
	v_add_f64 v[47:48], v[15:16], v[63:64]
	s_delay_alu instid0(VALU_DEP_4) | instskip(NEXT) | instid1(VALU_DEP_4)
	v_add_f64 v[25:26], v[39:40], v[41:42]
	v_add_f64 v[27:28], v[45:46], v[43:44]
	v_add_f64 v[39:40], v[23:24], v[55:56]
	v_add_f64 v[41:42], v[23:24], -v[55:56]
	v_add_f64 v[43:44], v[19:20], v[51:52]
	v_add_f64 v[45:46], v[19:20], -v[51:52]
	v_add_f64 v[21:22], v[25:26], v[53:54]
	v_add_f64 v[23:24], v[27:28], v[55:56]
	v_add_f64 v[53:54], v[11:12], -v[59:60]
	s_delay_alu instid0(VALU_DEP_3) | instskip(NEXT) | instid1(VALU_DEP_3)
	v_add_f64 v[17:18], v[21:22], v[49:50]
	v_add_f64 v[19:20], v[23:24], v[51:52]
	v_add_f64 v[49:50], v[15:16], -v[63:64]
	v_add_f64 v[51:52], v[11:12], v[59:60]
	s_delay_alu instid0(VALU_DEP_4) | instskip(NEXT) | instid1(VALU_DEP_4)
	v_add_f64 v[13:14], v[17:18], v[61:62]
	v_add_f64 v[15:16], v[19:20], v[63:64]
	v_add_f64 v[17:18], v[5:6], -v[65:66]
	v_add_f64 v[19:20], v[7:8], -v[67:68]
	s_delay_alu instid0(VALU_DEP_4) | instskip(NEXT) | instid1(VALU_DEP_4)
	v_add_f64 v[9:10], v[13:14], v[57:58]
	v_add_f64 v[11:12], v[15:16], v[59:60]
	;; [unrolled: 1-line block ×4, first 2 shown]
	v_mul_f64 v[63:64], v[17:18], s[40:41]
	v_mul_f64 v[80:81], v[17:18], s[46:47]
	;; [unrolled: 1-line block ×5, first 2 shown]
	v_add_f64 v[186:187], v[9:10], v[65:66]
	v_add_f64 v[188:189], v[11:12], v[67:68]
	v_mul_f64 v[9:10], v[13:14], s[18:19]
	v_mul_f64 v[11:12], v[13:14], s[24:25]
	;; [unrolled: 1-line block ×8, first 2 shown]
	v_fma_f64 v[98:99], v[15:16], s[28:29], -v[63:64]
	v_fma_f64 v[100:101], v[15:16], s[16:17], v[80:81]
	v_fma_f64 v[80:81], v[15:16], s[16:17], -v[80:81]
	v_fma_f64 v[94:95], v[15:16], s[28:29], v[63:64]
	v_fma_f64 v[102:103], v[15:16], s[14:15], v[82:83]
	v_fma_f64 v[82:83], v[15:16], s[14:15], -v[82:83]
	v_fma_f64 v[104:105], v[15:16], s[12:13], v[84:85]
	v_fma_f64 v[84:85], v[15:16], s[12:13], -v[84:85]
	;; [unrolled: 2-line block ×3, first 2 shown]
	v_fma_f64 v[57:58], v[19:20], s[38:39], v[9:10]
	v_fma_f64 v[9:10], v[19:20], s[26:27], v[9:10]
	;; [unrolled: 1-line block ×16, first 2 shown]
	v_mul_f64 v[19:20], v[17:18], s[26:27]
	v_mul_f64 v[55:56], v[17:18], s[30:31]
	;; [unrolled: 1-line block ×3, first 2 shown]
	v_add_f64 v[152:153], v[3:4], v[94:95]
	v_add_f64 v[191:192], v[3:4], v[100:101]
	;; [unrolled: 1-line block ×7, first 2 shown]
	v_mul_f64 v[84:85], v[138:139], s[42:43]
	v_mul_f64 v[86:87], v[136:137], s[10:11]
	;; [unrolled: 1-line block ×5, first 2 shown]
	v_add_f64 v[5:6], v[1:2], v[9:10]
	v_add_f64 v[9:10], v[1:2], v[59:60]
	;; [unrolled: 1-line block ×7, first 2 shown]
	v_fma_f64 v[27:28], v[49:50], s[30:31], v[251:252]
	v_fma_f64 v[88:89], v[15:16], s[18:19], v[19:20]
	v_fma_f64 v[19:20], v[15:16], s[18:19], -v[19:20]
	v_fma_f64 v[92:93], v[15:16], s[24:25], -v[55:56]
	v_fma_f64 v[90:91], v[15:16], s[24:25], v[55:56]
	v_fma_f64 v[108:109], v[15:16], s[0:1], v[17:18]
	v_fma_f64 v[15:16], v[15:16], s[0:1], -v[17:18]
	v_add_f64 v[17:18], v[1:2], v[57:58]
	scratch_store_b64 off, v[5:6], off offset:4 ; 8-byte Folded Spill
	v_add_f64 v[88:89], v[3:4], v[88:89]
	v_add_f64 v[5:6], v[3:4], v[19:20]
	;; [unrolled: 1-line block ×4, first 2 shown]
	v_mul_f64 v[90:91], v[132:133], s[0:1]
	v_mul_f64 v[108:109], v[174:175], s[42:43]
	scratch_store_b64 off, v[5:6], off offset:20 ; 8-byte Folded Spill
	v_add_f64 v[5:6], v[1:2], v[11:12]
	scratch_store_b64 off, v[5:6], off offset:52 ; 8-byte Folded Spill
	v_add_f64 v[5:6], v[3:4], v[92:93]
	v_mul_f64 v[92:93], v[130:131], s[34:35]
	scratch_store_b64 off, v[5:6], off offset:36 ; 8-byte Folded Spill
	v_add_f64 v[5:6], v[1:2], v[21:22]
	v_add_f64 v[21:22], v[1:2], v[65:66]
	scratch_store_b64 off, v[5:6], off offset:164 ; 8-byte Folded Spill
	v_add_f64 v[5:6], v[3:4], v[98:99]
	scratch_store_b64 off, v[5:6], off offset:156 ; 8-byte Folded Spill
	v_add_f64 v[5:6], v[1:2], v[23:24]
	v_add_f64 v[23:24], v[1:2], v[67:68]
	scratch_store_b64 off, v[5:6], off offset:180 ; 8-byte Folded Spill
	v_add_f64 v[5:6], v[3:4], v[80:81]
	scratch_store_b64 off, v[5:6], off offset:172 ; 8-byte Folded Spill
	v_add_f64 v[5:6], v[1:2], v[25:26]
	v_add_f64 v[25:26], v[1:2], v[72:73]
	;; [unrolled: 1-line block ×3, first 2 shown]
	v_fma_f64 v[13:14], v[49:50], s[58:59], v[106:107]
	scratch_store_b64 off, v[5:6], off offset:196 ; 8-byte Folded Spill
	v_add_f64 v[5:6], v[3:4], v[82:83]
	scratch_store_b64 off, v[0:1], off offset:212 ; 8-byte Folded Spill
	v_add_f64 v[0:1], v[3:4], v[15:16]
	v_mul_f64 v[3:4], v[180:181], s[30:31]
	scratch_store_b64 off, v[5:6], off offset:188 ; 8-byte Folded Spill
	v_mul_f64 v[5:6], v[176:177], s[28:29]
	scratch_store_b64 off, v[0:1], off offset:204 ; 8-byte Folded Spill
	;; [unrolled: 2-line block ×3, first 2 shown]
	v_fma_f64 v[3:4], v[51:52], s[24:25], v[3:4]
	scratch_store_b64 off, v[5:6], off offset:100 ; 8-byte Folded Spill
	v_fma_f64 v[11:12], v[49:50], s[48:49], v[5:6]
	scratch_store_b64 off, v[0:1], off offset:68 ; 8-byte Folded Spill
	v_fma_f64 v[1:2], v[53:54], s[54:55], v[0:1]
	v_mul_f64 v[5:6], v[174:175], s[40:41]
	v_add_f64 v[3:4], v[3:4], v[88:89]
	v_mul_f64 v[88:89], v[134:135], s[36:37]
	s_delay_alu instid0(VALU_DEP_4) | instskip(SKIP_4) | instid1(VALU_DEP_2)
	v_add_f64 v[1:2], v[1:2], v[17:18]
	scratch_store_b64 off, v[5:6], off offset:108 ; 8-byte Folded Spill
	v_add_f64 v[1:2], v[11:12], v[1:2]
	v_fma_f64 v[11:12], v[47:48], s[28:29], v[5:6]
	v_mul_f64 v[5:6], v[154:155], s[16:17]
	v_add_f64 v[3:4], v[11:12], v[3:4]
	scratch_store_b64 off, v[5:6], off offset:116 ; 8-byte Folded Spill
	v_fma_f64 v[11:12], v[45:46], s[60:61], v[5:6]
	v_mul_f64 v[5:6], v[150:151], s[46:47]
	s_delay_alu instid0(VALU_DEP_2) | instskip(SKIP_3) | instid1(VALU_DEP_2)
	v_add_f64 v[1:2], v[11:12], v[1:2]
	scratch_store_b64 off, v[5:6], off offset:124 ; 8-byte Folded Spill
	v_fma_f64 v[11:12], v[43:44], s[16:17], v[5:6]
	v_mul_f64 v[5:6], v[144:145], s[14:15]
	v_add_f64 v[3:4], v[11:12], v[3:4]
	scratch_store_b64 off, v[5:6], off offset:132 ; 8-byte Folded Spill
	v_fma_f64 v[11:12], v[41:42], s[50:51], v[5:6]
	v_mul_f64 v[5:6], v[142:143], s[44:45]
	s_delay_alu instid0(VALU_DEP_2) | instskip(SKIP_3) | instid1(VALU_DEP_2)
	v_add_f64 v[1:2], v[11:12], v[1:2]
	scratch_store_b64 off, v[5:6], off offset:140 ; 8-byte Folded Spill
	v_fma_f64 v[11:12], v[39:40], s[14:15], v[5:6]
	v_mul_f64 v[5:6], v[140:141], s[12:13]
	v_add_f64 v[3:4], v[11:12], v[3:4]
	s_delay_alu instid0(VALU_DEP_2) | instskip(SKIP_4) | instid1(VALU_DEP_1)
	v_fma_f64 v[11:12], v[35:36], s[58:59], v[5:6]
	scratch_store_b64 off, v[5:6], off offset:148 ; 8-byte Folded Spill
	v_mul_f64 v[6:7], v[142:143], s[34:35]
	v_add_f64 v[1:2], v[11:12], v[1:2]
	v_fma_f64 v[11:12], v[31:32], s[12:13], v[84:85]
	v_add_f64 v[3:4], v[11:12], v[3:4]
	v_fma_f64 v[11:12], v[29:30], s[52:53], v[86:87]
	s_delay_alu instid0(VALU_DEP_1) | instskip(SKIP_1) | instid1(VALU_DEP_1)
	v_add_f64 v[1:2], v[11:12], v[1:2]
	v_fma_f64 v[11:12], v[33:34], s[10:11], v[88:89]
	v_add_f64 v[3:4], v[11:12], v[3:4]
	v_fma_f64 v[11:12], v[37:38], s[56:57], v[90:91]
	s_delay_alu instid0(VALU_DEP_1) | instskip(SKIP_2) | instid1(VALU_DEP_2)
	v_add_f64 v[72:73], v[11:12], v[1:2]
	v_fma_f64 v[11:12], v[70:71], s[0:1], v[92:93]
	v_mul_f64 v[0:1], v[150:151], s[40:41]
	v_add_f64 v[74:75], v[11:12], v[3:4]
	v_fma_f64 v[11:12], v[53:54], s[60:61], v[102:103]
	s_delay_alu instid0(VALU_DEP_3) | instskip(SKIP_2) | instid1(VALU_DEP_4)
	v_fma_f64 v[2:3], v[43:44], s[28:29], v[0:1]
	v_mul_f64 v[4:5], v[144:145], s[0:1]
	v_fma_f64 v[0:1], v[43:44], s[28:29], -v[0:1]
	v_add_f64 v[9:10], v[11:12], v[9:10]
	v_fma_f64 v[11:12], v[51:52], s[16:17], v[104:105]
	s_delay_alu instid0(VALU_DEP_2) | instskip(NEXT) | instid1(VALU_DEP_2)
	v_add_f64 v[9:10], v[13:14], v[9:10]
	v_add_f64 v[11:12], v[11:12], v[19:20]
	v_fma_f64 v[13:14], v[47:48], s[12:13], v[108:109]
	v_fma_f64 v[19:20], v[51:52], s[0:1], v[219:220]
	s_delay_alu instid0(VALU_DEP_2) | instskip(SKIP_1) | instid1(VALU_DEP_3)
	v_add_f64 v[11:12], v[13:14], v[11:12]
	v_fma_f64 v[13:14], v[45:46], s[56:57], v[110:111]
	v_add_f64 v[19:20], v[19:20], v[191:192]
	v_mul_f64 v[191:192], v[180:181], s[50:51]
	s_delay_alu instid0(VALU_DEP_3) | instskip(SKIP_1) | instid1(VALU_DEP_1)
	v_add_f64 v[9:10], v[13:14], v[9:10]
	v_fma_f64 v[13:14], v[43:44], s[0:1], v[112:113]
	v_add_f64 v[11:12], v[13:14], v[11:12]
	v_fma_f64 v[13:14], v[41:42], s[36:37], v[114:115]
	s_delay_alu instid0(VALU_DEP_1) | instskip(SKIP_1) | instid1(VALU_DEP_1)
	v_add_f64 v[9:10], v[13:14], v[9:10]
	v_fma_f64 v[13:14], v[39:40], s[10:11], v[116:117]
	v_add_f64 v[11:12], v[13:14], v[11:12]
	v_fma_f64 v[13:14], v[35:36], s[44:45], v[118:119]
	s_delay_alu instid0(VALU_DEP_1) | instskip(SKIP_1) | instid1(VALU_DEP_1)
	;; [unrolled: 5-line block ×3, first 2 shown]
	v_add_f64 v[9:10], v[13:14], v[9:10]
	v_fma_f64 v[13:14], v[33:34], s[28:29], v[124:125]
	v_add_f64 v[11:12], v[13:14], v[11:12]
	v_fma_f64 v[13:14], v[37:38], s[26:27], v[126:127]
	s_delay_alu instid0(VALU_DEP_1) | instskip(SKIP_2) | instid1(VALU_DEP_2)
	v_add_f64 v[63:64], v[13:14], v[9:10]
	v_fma_f64 v[13:14], v[70:71], s[18:19], v[128:129]
	v_mul_f64 v[8:9], v[140:141], s[16:17]
	v_add_f64 v[65:66], v[13:14], v[11:12]
	v_fma_f64 v[13:14], v[53:54], s[58:59], v[146:147]
	s_delay_alu instid0(VALU_DEP_3) | instskip(NEXT) | instid1(VALU_DEP_2)
	v_fma_f64 v[10:11], v[35:36], s[46:47], v[8:9]
	v_add_f64 v[13:14], v[13:14], v[148:149]
	v_mul_f64 v[148:149], v[180:181], s[42:43]
	s_delay_alu instid0(VALU_DEP_1) | instskip(NEXT) | instid1(VALU_DEP_1)
	v_fma_f64 v[15:16], v[51:52], s[12:13], v[148:149]
	v_add_f64 v[15:16], v[15:16], v[152:153]
	v_mul_f64 v[152:153], v[176:177], s[0:1]
	s_delay_alu instid0(VALU_DEP_1) | instskip(NEXT) | instid1(VALU_DEP_1)
	v_fma_f64 v[17:18], v[49:50], s[34:35], v[152:153]
	v_add_f64 v[13:14], v[17:18], v[13:14]
	v_fma_f64 v[17:18], v[47:48], s[0:1], v[156:157]
	s_delay_alu instid0(VALU_DEP_1) | instskip(SKIP_1) | instid1(VALU_DEP_1)
	v_add_f64 v[15:16], v[17:18], v[15:16]
	v_fma_f64 v[17:18], v[45:46], s[44:45], v[158:159]
	v_add_f64 v[13:14], v[17:18], v[13:14]
	v_fma_f64 v[17:18], v[43:44], s[14:15], v[160:161]
	s_delay_alu instid0(VALU_DEP_1) | instskip(SKIP_1) | instid1(VALU_DEP_1)
	v_add_f64 v[15:16], v[17:18], v[15:16]
	;; [unrolled: 5-line block ×5, first 2 shown]
	v_fma_f64 v[17:18], v[37:38], s[52:53], v[178:179]
	v_add_f64 v[59:60], v[17:18], v[13:14]
	v_fma_f64 v[17:18], v[70:71], s[10:11], v[184:185]
	v_mul_f64 v[12:13], v[138:139], s[60:61]
	s_delay_alu instid0(VALU_DEP_2) | instskip(SKIP_1) | instid1(VALU_DEP_3)
	v_add_f64 v[61:62], v[17:18], v[15:16]
	v_fma_f64 v[17:18], v[53:54], s[56:57], v[217:218]
	v_fma_f64 v[14:15], v[31:32], s[16:17], v[12:13]
	s_delay_alu instid0(VALU_DEP_2) | instskip(SKIP_1) | instid1(VALU_DEP_1)
	v_add_f64 v[17:18], v[17:18], v[21:22]
	v_fma_f64 v[21:22], v[49:50], s[44:45], v[221:222]
	v_add_f64 v[17:18], v[21:22], v[17:18]
	v_fma_f64 v[21:22], v[47:48], s[14:15], v[223:224]
	s_delay_alu instid0(VALU_DEP_1) | instskip(SKIP_1) | instid1(VALU_DEP_1)
	v_add_f64 v[19:20], v[21:22], v[19:20]
	v_fma_f64 v[21:22], v[45:46], s[26:27], v[225:226]
	v_add_f64 v[17:18], v[21:22], v[17:18]
	v_fma_f64 v[21:22], v[43:44], s[18:19], v[227:228]
	s_delay_alu instid0(VALU_DEP_1) | instskip(SKIP_1) | instid1(VALU_DEP_1)
	;; [unrolled: 5-line block ×5, first 2 shown]
	v_add_f64 v[19:20], v[21:22], v[19:20]
	v_fma_f64 v[21:22], v[37:38], s[30:31], v[241:242]
	v_add_f64 v[55:56], v[21:22], v[17:18]
	v_fma_f64 v[21:22], v[70:71], s[24:25], v[245:246]
	v_mul_f64 v[16:17], v[134:135], s[26:27]
	s_delay_alu instid0(VALU_DEP_2) | instskip(SKIP_1) | instid1(VALU_DEP_3)
	v_add_f64 v[57:58], v[21:22], v[19:20]
	v_fma_f64 v[21:22], v[53:54], s[36:37], v[247:248]
	v_fma_f64 v[18:19], v[33:34], s[18:19], v[16:17]
	s_delay_alu instid0(VALU_DEP_2) | instskip(SKIP_1) | instid1(VALU_DEP_2)
	v_add_f64 v[21:22], v[21:22], v[23:24]
	v_fma_f64 v[23:24], v[51:52], s[10:11], v[249:250]
	v_add_f64 v[21:22], v[27:28], v[21:22]
	s_delay_alu instid0(VALU_DEP_2) | instskip(SKIP_2) | instid1(VALU_DEP_2)
	v_add_f64 v[23:24], v[23:24], v[193:194]
	v_fma_f64 v[27:28], v[47:48], s[24:25], v[253:254]
	v_mul_f64 v[193:194], v[176:177], s[18:19]
	v_add_f64 v[23:24], v[27:28], v[23:24]
	v_fma_f64 v[27:28], v[45:46], s[48:49], v[243:244]
	s_delay_alu instid0(VALU_DEP_2) | instskip(NEXT) | instid1(VALU_DEP_2)
	v_add_f64 v[2:3], v[2:3], v[23:24]
	v_add_f64 v[21:22], v[27:28], v[21:22]
	v_fma_f64 v[23:24], v[41:42], s[56:57], v[4:5]
	v_fma_f64 v[4:5], v[41:42], s[34:35], v[4:5]
	s_delay_alu instid0(VALU_DEP_2) | instskip(SKIP_1) | instid1(VALU_DEP_2)
	v_add_f64 v[21:22], v[23:24], v[21:22]
	v_fma_f64 v[23:24], v[39:40], s[0:1], v[6:7]
	v_add_f64 v[10:11], v[10:11], v[21:22]
	s_delay_alu instid0(VALU_DEP_2) | instskip(NEXT) | instid1(VALU_DEP_1)
	v_add_f64 v[2:3], v[23:24], v[2:3]
	v_add_f64 v[2:3], v[14:15], v[2:3]
	v_mul_f64 v[14:15], v[136:137], s[18:19]
	s_delay_alu instid0(VALU_DEP_2) | instskip(NEXT) | instid1(VALU_DEP_2)
	v_add_f64 v[2:3], v[18:19], v[2:3]
	v_fma_f64 v[21:22], v[29:30], s[38:39], v[14:15]
	v_mul_f64 v[18:19], v[132:133], s[12:13]
	s_delay_alu instid0(VALU_DEP_2) | instskip(NEXT) | instid1(VALU_DEP_2)
	v_add_f64 v[10:11], v[21:22], v[10:11]
	v_fma_f64 v[20:21], v[37:38], s[58:59], v[18:19]
	s_delay_alu instid0(VALU_DEP_1) | instskip(SKIP_1) | instid1(VALU_DEP_1)
	v_add_f64 v[21:22], v[20:21], v[10:11]
	v_mul_f64 v[10:11], v[130:131], s[42:43]
	v_fma_f64 v[23:24], v[70:71], s[12:13], v[10:11]
	s_delay_alu instid0(VALU_DEP_1) | instskip(SKIP_1) | instid1(VALU_DEP_1)
	v_add_f64 v[23:24], v[23:24], v[2:3]
	v_mul_f64 v[2:3], v[182:183], s[14:15]
	v_fma_f64 v[27:28], v[53:54], s[44:45], v[2:3]
	v_fma_f64 v[2:3], v[53:54], s[50:51], v[2:3]
	s_delay_alu instid0(VALU_DEP_2) | instskip(SKIP_1) | instid1(VALU_DEP_3)
	v_add_f64 v[25:26], v[27:28], v[25:26]
	v_fma_f64 v[27:28], v[51:52], s[14:15], v[191:192]
	v_add_f64 v[2:3], v[2:3], v[197:198]
	s_delay_alu instid0(VALU_DEP_2) | instskip(SKIP_1) | instid1(VALU_DEP_1)
	v_add_f64 v[27:28], v[27:28], v[195:196]
	v_fma_f64 v[195:196], v[49:50], s[38:39], v[193:194]
	v_add_f64 v[25:26], v[195:196], v[25:26]
	v_mul_f64 v[195:196], v[174:175], s[26:27]
	s_delay_alu instid0(VALU_DEP_1) | instskip(NEXT) | instid1(VALU_DEP_1)
	v_fma_f64 v[100:101], v[47:48], s[18:19], v[195:196]
	v_add_f64 v[27:28], v[100:101], v[27:28]
	v_mul_f64 v[100:101], v[154:155], s[10:11]
	s_delay_alu instid0(VALU_DEP_1) | instskip(SKIP_1) | instid1(VALU_DEP_2)
	v_fma_f64 v[98:99], v[45:46], s[52:53], v[100:101]
	v_fma_f64 v[100:101], v[45:46], s[36:37], v[100:101]
	v_add_f64 v[25:26], v[98:99], v[25:26]
	v_mul_f64 v[98:99], v[150:151], s[36:37]
	s_delay_alu instid0(VALU_DEP_1) | instskip(SKIP_1) | instid1(VALU_DEP_2)
	v_fma_f64 v[96:97], v[43:44], s[10:11], v[98:99]
	v_fma_f64 v[98:99], v[43:44], s[10:11], -v[98:99]
	v_add_f64 v[27:28], v[96:97], v[27:28]
	v_mul_f64 v[96:97], v[144:145], s[16:17]
	s_delay_alu instid0(VALU_DEP_1) | instskip(SKIP_1) | instid1(VALU_DEP_2)
	v_fma_f64 v[94:95], v[41:42], s[46:47], v[96:97]
	v_fma_f64 v[96:97], v[41:42], s[60:61], v[96:97]
	v_add_f64 v[25:26], v[94:95], v[25:26]
	v_mul_f64 v[94:95], v[142:143], s[60:61]
	s_delay_alu instid0(VALU_DEP_1) | instskip(SKIP_1) | instid1(VALU_DEP_2)
	v_fma_f64 v[67:68], v[39:40], s[16:17], v[94:95]
	v_fma_f64 v[94:95], v[39:40], s[16:17], -v[94:95]
	v_add_f64 v[27:28], v[67:68], v[27:28]
	v_mul_f64 v[67:68], v[140:141], s[24:25]
	s_delay_alu instid0(VALU_DEP_1) | instskip(SKIP_1) | instid1(VALU_DEP_2)
	v_fma_f64 v[215:216], v[35:36], s[54:55], v[67:68]
	v_fma_f64 v[67:68], v[35:36], s[30:31], v[67:68]
	v_add_f64 v[25:26], v[215:216], v[25:26]
	v_mul_f64 v[215:216], v[138:139], s[30:31]
	s_delay_alu instid0(VALU_DEP_1) | instskip(NEXT) | instid1(VALU_DEP_1)
	v_fma_f64 v[213:214], v[31:32], s[24:25], v[215:216]
	v_add_f64 v[27:28], v[213:214], v[27:28]
	v_mul_f64 v[213:214], v[136:137], s[0:1]
	s_delay_alu instid0(VALU_DEP_1) | instskip(NEXT) | instid1(VALU_DEP_1)
	v_fma_f64 v[76:77], v[29:30], s[56:57], v[213:214]
	v_add_f64 v[25:26], v[76:77], v[25:26]
	v_mul_f64 v[76:77], v[134:135], s[34:35]
	s_delay_alu instid0(VALU_DEP_1) | instskip(SKIP_1) | instid1(VALU_DEP_2)
	v_fma_f64 v[78:79], v[33:34], s[0:1], v[76:77]
	v_fma_f64 v[76:77], v[33:34], s[0:1], -v[76:77]
	v_add_f64 v[27:28], v[78:79], v[27:28]
	v_mul_f64 v[78:79], v[132:133], s[28:29]
	s_delay_alu instid0(VALU_DEP_1) | instskip(NEXT) | instid1(VALU_DEP_1)
	v_fma_f64 v[80:81], v[37:38], s[40:41], v[78:79]
	v_add_f64 v[25:26], v[80:81], v[25:26]
	v_mul_f64 v[80:81], v[130:131], s[48:49]
	s_delay_alu instid0(VALU_DEP_1) | instskip(NEXT) | instid1(VALU_DEP_1)
	v_fma_f64 v[82:83], v[70:71], s[28:29], v[80:81]
	v_add_f64 v[27:28], v[82:83], v[27:28]
	v_fma_f64 v[82:83], v[51:52], s[14:15], -v[191:192]
	v_fma_f64 v[191:192], v[49:50], s[26:27], v[193:194]
	s_delay_alu instid0(VALU_DEP_2) | instskip(NEXT) | instid1(VALU_DEP_2)
	v_add_f64 v[82:83], v[82:83], v[199:200]
	v_add_f64 v[2:3], v[191:192], v[2:3]
	v_fma_f64 v[191:192], v[47:48], s[18:19], -v[195:196]
	v_mul_f64 v[199:200], v[140:141], s[0:1]
	v_mul_f64 v[140:141], v[140:141], s[28:29]
	s_delay_alu instid0(VALU_DEP_4) | instskip(NEXT) | instid1(VALU_DEP_4)
	v_add_f64 v[2:3], v[100:101], v[2:3]
	v_add_f64 v[82:83], v[191:192], v[82:83]
	s_delay_alu instid0(VALU_DEP_2) | instskip(NEXT) | instid1(VALU_DEP_2)
	v_add_f64 v[2:3], v[96:97], v[2:3]
	v_add_f64 v[82:83], v[98:99], v[82:83]
	s_delay_alu instid0(VALU_DEP_2) | instskip(NEXT) | instid1(VALU_DEP_2)
	v_add_f64 v[2:3], v[67:68], v[2:3]
	v_add_f64 v[82:83], v[94:95], v[82:83]
	v_fma_f64 v[67:68], v[31:32], s[24:25], -v[215:216]
	v_mul_f64 v[215:216], v[132:133], s[14:15]
	s_delay_alu instid0(VALU_DEP_2) | instskip(SKIP_3) | instid1(VALU_DEP_4)
	v_add_f64 v[67:68], v[67:68], v[82:83]
	v_fma_f64 v[82:83], v[29:30], s[34:35], v[213:214]
	v_mul_f64 v[213:214], v[134:135], s[54:55]
	v_mul_f64 v[134:135], v[134:135], s[44:45]
	v_add_f64 v[67:68], v[76:77], v[67:68]
	s_delay_alu instid0(VALU_DEP_4) | instskip(SKIP_3) | instid1(VALU_DEP_3)
	v_add_f64 v[2:3], v[82:83], v[2:3]
	v_fma_f64 v[76:77], v[37:38], s[48:49], v[78:79]
	v_fma_f64 v[78:79], v[70:71], s[28:29], -v[80:81]
	v_mul_f64 v[80:81], v[176:177], s[16:17]
	v_add_f64 v[191:192], v[76:77], v[2:3]
	v_mul_f64 v[2:3], v[182:183], s[28:29]
	s_delay_alu instid0(VALU_DEP_4) | instskip(SKIP_2) | instid1(VALU_DEP_4)
	v_add_f64 v[193:194], v[78:79], v[67:68]
	v_mul_f64 v[76:77], v[180:181], s[48:49]
	v_fma_f64 v[82:83], v[49:50], s[60:61], v[80:81]
	v_fma_f64 v[67:68], v[53:54], s[40:41], v[2:3]
	;; [unrolled: 1-line block ×3, first 2 shown]
	s_delay_alu instid0(VALU_DEP_4) | instskip(SKIP_1) | instid1(VALU_DEP_4)
	v_fma_f64 v[78:79], v[51:52], s[28:29], v[76:77]
	v_fma_f64 v[76:77], v[51:52], s[28:29], -v[76:77]
	v_add_f64 v[67:68], v[67:68], v[201:202]
	v_mul_f64 v[201:202], v[138:139], s[34:35]
	s_delay_alu instid0(VALU_DEP_4)
	v_add_f64 v[78:79], v[78:79], v[203:204]
	v_mul_f64 v[203:204], v[136:137], s[24:25]
	v_add_f64 v[2:3], v[2:3], v[205:206]
	v_add_f64 v[76:77], v[76:77], v[207:208]
	v_mul_f64 v[138:139], v[138:139], s[48:49]
	v_mul_f64 v[136:137], v[136:137], s[14:15]
	v_add_f64 v[67:68], v[82:83], v[67:68]
	v_mul_f64 v[82:83], v[174:175], s[46:47]
	s_delay_alu instid0(VALU_DEP_1) | instskip(NEXT) | instid1(VALU_DEP_1)
	v_fma_f64 v[94:95], v[47:48], s[16:17], v[82:83]
	v_add_f64 v[78:79], v[94:95], v[78:79]
	v_mul_f64 v[94:95], v[154:155], s[12:13]
	s_delay_alu instid0(VALU_DEP_1) | instskip(NEXT) | instid1(VALU_DEP_1)
	v_fma_f64 v[96:97], v[45:46], s[42:43], v[94:95]
	;; [unrolled: 4-line block ×5, first 2 shown]
	v_add_f64 v[78:79], v[195:196], v[78:79]
	v_fma_f64 v[195:196], v[35:36], s[56:57], v[199:200]
	s_delay_alu instid0(VALU_DEP_1) | instskip(SKIP_1) | instid1(VALU_DEP_1)
	v_add_f64 v[67:68], v[195:196], v[67:68]
	v_fma_f64 v[195:196], v[31:32], s[0:1], v[201:202]
	v_add_f64 v[78:79], v[195:196], v[78:79]
	v_fma_f64 v[195:196], v[29:30], s[30:31], v[203:204]
	s_delay_alu instid0(VALU_DEP_1) | instskip(SKIP_1) | instid1(VALU_DEP_1)
	v_add_f64 v[67:68], v[195:196], v[67:68]
	v_fma_f64 v[195:196], v[33:34], s[24:25], v[213:214]
	v_add_f64 v[78:79], v[195:196], v[78:79]
	v_fma_f64 v[195:196], v[37:38], s[50:51], v[215:216]
	s_delay_alu instid0(VALU_DEP_1) | instskip(SKIP_1) | instid1(VALU_DEP_1)
	v_add_f64 v[195:196], v[195:196], v[67:68]
	v_mul_f64 v[67:68], v[130:131], s[44:45]
	v_fma_f64 v[197:198], v[70:71], s[14:15], v[67:68]
	v_fma_f64 v[67:68], v[70:71], s[14:15], -v[67:68]
	s_delay_alu instid0(VALU_DEP_2) | instskip(SKIP_2) | instid1(VALU_DEP_2)
	v_add_f64 v[197:198], v[197:198], v[78:79]
	v_fma_f64 v[78:79], v[49:50], s[46:47], v[80:81]
	v_mul_f64 v[80:81], v[176:177], s[10:11]
	v_add_f64 v[2:3], v[78:79], v[2:3]
	v_fma_f64 v[78:79], v[47:48], s[16:17], -v[82:83]
	s_delay_alu instid0(VALU_DEP_3) | instskip(NEXT) | instid1(VALU_DEP_2)
	v_fma_f64 v[82:83], v[49:50], s[52:53], v[80:81]
	v_add_f64 v[76:77], v[78:79], v[76:77]
	v_fma_f64 v[78:79], v[45:46], s[58:59], v[94:95]
	s_delay_alu instid0(VALU_DEP_1) | instskip(SKIP_1) | instid1(VALU_DEP_1)
	v_add_f64 v[2:3], v[78:79], v[2:3]
	v_fma_f64 v[78:79], v[43:44], s[12:13], -v[96:97]
	v_add_f64 v[76:77], v[78:79], v[76:77]
	v_fma_f64 v[78:79], v[41:42], s[26:27], v[98:99]
	s_delay_alu instid0(VALU_DEP_1) | instskip(SKIP_1) | instid1(VALU_DEP_1)
	v_add_f64 v[2:3], v[78:79], v[2:3]
	v_fma_f64 v[78:79], v[39:40], s[18:19], -v[100:101]
	;; [unrolled: 5-line block ×4, first 2 shown]
	v_add_f64 v[76:77], v[78:79], v[76:77]
	v_fma_f64 v[78:79], v[37:38], s[44:45], v[215:216]
	s_delay_alu instid0(VALU_DEP_2) | instskip(NEXT) | instid1(VALU_DEP_2)
	v_add_f64 v[201:202], v[67:68], v[76:77]
	v_add_f64 v[199:200], v[78:79], v[2:3]
	v_mul_f64 v[2:3], v[182:183], s[18:19]
	v_mul_f64 v[76:77], v[180:181], s[38:39]
	s_delay_alu instid0(VALU_DEP_2) | instskip(NEXT) | instid1(VALU_DEP_2)
	v_fma_f64 v[67:68], v[53:54], s[26:27], v[2:3]
	v_fma_f64 v[78:79], v[51:52], s[18:19], v[76:77]
	;; [unrolled: 1-line block ×3, first 2 shown]
	s_delay_alu instid0(VALU_DEP_3) | instskip(NEXT) | instid1(VALU_DEP_3)
	v_add_f64 v[67:68], v[67:68], v[209:210]
	v_add_f64 v[78:79], v[78:79], v[211:212]
	s_delay_alu instid0(VALU_DEP_2) | instskip(SKIP_1) | instid1(VALU_DEP_1)
	v_add_f64 v[67:68], v[82:83], v[67:68]
	v_mul_f64 v[82:83], v[174:175], s[36:37]
	v_fma_f64 v[94:95], v[47:48], s[10:11], v[82:83]
	s_delay_alu instid0(VALU_DEP_1) | instskip(SKIP_1) | instid1(VALU_DEP_1)
	v_add_f64 v[78:79], v[94:95], v[78:79]
	v_mul_f64 v[94:95], v[154:155], s[24:25]
	v_fma_f64 v[96:97], v[45:46], s[30:31], v[94:95]
	s_delay_alu instid0(VALU_DEP_1) | instskip(SKIP_1) | instid1(VALU_DEP_1)
	v_add_f64 v[67:68], v[96:97], v[67:68]
	v_mul_f64 v[96:97], v[150:151], s[54:55]
	v_fma_f64 v[98:99], v[43:44], s[24:25], v[96:97]
	s_delay_alu instid0(VALU_DEP_1) | instskip(SKIP_2) | instid1(VALU_DEP_2)
	v_add_f64 v[78:79], v[98:99], v[78:79]
	v_mul_f64 v[98:99], v[144:145], s[12:13]
	v_mul_f64 v[144:145], v[130:131], s[60:61]
	v_fma_f64 v[100:101], v[41:42], s[58:59], v[98:99]
	s_delay_alu instid0(VALU_DEP_1) | instskip(SKIP_1) | instid1(VALU_DEP_1)
	v_add_f64 v[67:68], v[100:101], v[67:68]
	v_mul_f64 v[100:101], v[142:143], s[42:43]
	v_fma_f64 v[142:143], v[39:40], s[12:13], v[100:101]
	s_delay_alu instid0(VALU_DEP_1) | instskip(SKIP_1) | instid1(VALU_DEP_1)
	v_add_f64 v[78:79], v[142:143], v[78:79]
	v_fma_f64 v[142:143], v[35:36], s[40:41], v[140:141]
	v_add_f64 v[67:68], v[142:143], v[67:68]
	v_fma_f64 v[142:143], v[31:32], s[28:29], v[138:139]
	s_delay_alu instid0(VALU_DEP_1) | instskip(SKIP_1) | instid1(VALU_DEP_1)
	v_add_f64 v[78:79], v[142:143], v[78:79]
	v_fma_f64 v[142:143], v[29:30], s[50:51], v[136:137]
	v_add_f64 v[67:68], v[142:143], v[67:68]
	v_fma_f64 v[142:143], v[33:34], s[14:15], v[134:135]
	s_delay_alu instid0(VALU_DEP_1) | instskip(SKIP_1) | instid1(VALU_DEP_1)
	v_add_f64 v[78:79], v[142:143], v[78:79]
	v_mul_f64 v[142:143], v[132:133], s[16:17]
	v_fma_f64 v[130:131], v[37:38], s[46:47], v[142:143]
	s_delay_alu instid0(VALU_DEP_1) | instskip(SKIP_1) | instid1(VALU_DEP_1)
	v_add_f64 v[130:131], v[130:131], v[67:68]
	v_fma_f64 v[67:68], v[70:71], s[16:17], v[144:145]
	v_add_f64 v[132:133], v[67:68], v[78:79]
	scratch_load_b64 v[67:68], off, off offset:212 ; 8-byte Folded Reload
	v_fma_f64 v[78:79], v[70:71], s[16:17], -v[144:145]
	s_waitcnt vmcnt(0)
	v_add_f64 v[2:3], v[2:3], v[67:68]
	v_fma_f64 v[67:68], v[51:52], s[18:19], -v[76:77]
	scratch_load_b64 v[76:77], off, off offset:204 ; 8-byte Folded Reload
	s_waitcnt vmcnt(0)
	v_add_f64 v[67:68], v[67:68], v[76:77]
	v_fma_f64 v[76:77], v[49:50], s[36:37], v[80:81]
	s_delay_alu instid0(VALU_DEP_1) | instskip(SKIP_1) | instid1(VALU_DEP_1)
	v_add_f64 v[2:3], v[76:77], v[2:3]
	v_fma_f64 v[76:77], v[47:48], s[10:11], -v[82:83]
	v_add_f64 v[67:68], v[76:77], v[67:68]
	v_fma_f64 v[76:77], v[45:46], s[54:55], v[94:95]
	s_delay_alu instid0(VALU_DEP_1) | instskip(SKIP_1) | instid1(VALU_DEP_1)
	v_add_f64 v[2:3], v[76:77], v[2:3]
	v_fma_f64 v[76:77], v[43:44], s[24:25], -v[96:97]
	;; [unrolled: 5-line block ×5, first 2 shown]
	v_add_f64 v[67:68], v[76:77], v[67:68]
	v_fma_f64 v[76:77], v[37:38], s[60:61], v[142:143]
	s_delay_alu instid0(VALU_DEP_2)
	v_add_f64 v[136:137], v[78:79], v[67:68]
	scratch_load_b64 v[67:68], off, off offset:196 ; 8-byte Folded Reload
	v_add_f64 v[134:135], v[76:77], v[2:3]
	scratch_load_b64 v[76:77], off, off offset:188 ; 8-byte Folded Reload
	v_fma_f64 v[2:3], v[53:54], s[52:53], v[247:248]
	s_waitcnt vmcnt(1)
	s_delay_alu instid0(VALU_DEP_1) | instskip(SKIP_2) | instid1(VALU_DEP_1)
	v_add_f64 v[2:3], v[2:3], v[67:68]
	v_fma_f64 v[67:68], v[51:52], s[10:11], -v[249:250]
	s_waitcnt vmcnt(0)
	v_add_f64 v[67:68], v[67:68], v[76:77]
	v_fma_f64 v[76:77], v[49:50], s[54:55], v[251:252]
	s_delay_alu instid0(VALU_DEP_1) | instskip(SKIP_1) | instid1(VALU_DEP_1)
	v_add_f64 v[2:3], v[76:77], v[2:3]
	v_fma_f64 v[76:77], v[47:48], s[24:25], -v[253:254]
	v_add_f64 v[67:68], v[76:77], v[67:68]
	v_fma_f64 v[76:77], v[45:46], s[40:41], v[243:244]
	s_delay_alu instid0(VALU_DEP_2) | instskip(NEXT) | instid1(VALU_DEP_2)
	v_add_f64 v[0:1], v[0:1], v[67:68]
	v_add_f64 v[2:3], v[76:77], v[2:3]
	s_delay_alu instid0(VALU_DEP_1) | instskip(SKIP_2) | instid1(VALU_DEP_2)
	v_add_f64 v[2:3], v[4:5], v[2:3]
	v_fma_f64 v[4:5], v[39:40], s[0:1], -v[6:7]
	v_fma_f64 v[6:7], v[70:71], s[12:13], -v[10:11]
	v_add_f64 v[0:1], v[4:5], v[0:1]
	v_fma_f64 v[4:5], v[35:36], s[60:61], v[8:9]
	s_delay_alu instid0(VALU_DEP_1) | instskip(SKIP_1) | instid1(VALU_DEP_1)
	v_add_f64 v[2:3], v[4:5], v[2:3]
	v_fma_f64 v[4:5], v[31:32], s[16:17], -v[12:13]
	v_add_f64 v[0:1], v[4:5], v[0:1]
	v_fma_f64 v[4:5], v[29:30], s[26:27], v[14:15]
	s_delay_alu instid0(VALU_DEP_1) | instskip(SKIP_1) | instid1(VALU_DEP_1)
	v_add_f64 v[2:3], v[4:5], v[2:3]
	v_fma_f64 v[4:5], v[33:34], s[18:19], -v[16:17]
	v_add_f64 v[0:1], v[4:5], v[0:1]
	v_fma_f64 v[4:5], v[37:38], s[42:43], v[18:19]
	s_delay_alu instid0(VALU_DEP_2) | instskip(NEXT) | instid1(VALU_DEP_2)
	v_add_f64 v[140:141], v[6:7], v[0:1]
	v_add_f64 v[138:139], v[4:5], v[2:3]
	s_clause 0x1
	scratch_load_b64 v[2:3], off, off offset:180
	scratch_load_b64 v[4:5], off, off offset:172
	v_fma_f64 v[0:1], v[53:54], s[34:35], v[217:218]
	v_fma_f64 v[6:7], v[70:71], s[24:25], -v[245:246]
	s_waitcnt vmcnt(1)
	s_delay_alu instid0(VALU_DEP_2) | instskip(SKIP_2) | instid1(VALU_DEP_1)
	v_add_f64 v[0:1], v[0:1], v[2:3]
	v_fma_f64 v[2:3], v[51:52], s[0:1], -v[219:220]
	s_waitcnt vmcnt(0)
	v_add_f64 v[2:3], v[2:3], v[4:5]
	v_fma_f64 v[4:5], v[49:50], s[50:51], v[221:222]
	s_delay_alu instid0(VALU_DEP_1) | instskip(SKIP_1) | instid1(VALU_DEP_1)
	v_add_f64 v[0:1], v[4:5], v[0:1]
	v_fma_f64 v[4:5], v[47:48], s[14:15], -v[223:224]
	v_add_f64 v[2:3], v[4:5], v[2:3]
	v_fma_f64 v[4:5], v[45:46], s[38:39], v[225:226]
	s_delay_alu instid0(VALU_DEP_1) | instskip(SKIP_1) | instid1(VALU_DEP_1)
	v_add_f64 v[0:1], v[4:5], v[0:1]
	v_fma_f64 v[4:5], v[43:44], s[18:19], -v[227:228]
	;; [unrolled: 5-line block ×5, first 2 shown]
	v_add_f64 v[2:3], v[4:5], v[2:3]
	v_fma_f64 v[4:5], v[37:38], s[54:55], v[241:242]
	s_delay_alu instid0(VALU_DEP_2)
	v_add_f64 v[100:101], v[6:7], v[2:3]
	scratch_load_b64 v[2:3], off, off offset:164 ; 8-byte Folded Reload
	v_add_f64 v[98:99], v[4:5], v[0:1]
	scratch_load_b64 v[4:5], off, off offset:156 ; 8-byte Folded Reload
	v_fma_f64 v[0:1], v[53:54], s[42:43], v[146:147]
	v_fma_f64 v[6:7], v[70:71], s[10:11], -v[184:185]
	s_waitcnt vmcnt(1)
	s_delay_alu instid0(VALU_DEP_2) | instskip(SKIP_2) | instid1(VALU_DEP_1)
	v_add_f64 v[0:1], v[0:1], v[2:3]
	v_fma_f64 v[2:3], v[51:52], s[12:13], -v[148:149]
	s_waitcnt vmcnt(0)
	v_add_f64 v[2:3], v[2:3], v[4:5]
	v_fma_f64 v[4:5], v[49:50], s[56:57], v[152:153]
	s_delay_alu instid0(VALU_DEP_1) | instskip(SKIP_1) | instid1(VALU_DEP_1)
	v_add_f64 v[0:1], v[4:5], v[0:1]
	v_fma_f64 v[4:5], v[47:48], s[0:1], -v[156:157]
	v_add_f64 v[2:3], v[4:5], v[2:3]
	v_fma_f64 v[4:5], v[45:46], s[50:51], v[158:159]
	s_delay_alu instid0(VALU_DEP_1) | instskip(SKIP_1) | instid1(VALU_DEP_1)
	v_add_f64 v[0:1], v[4:5], v[0:1]
	v_fma_f64 v[4:5], v[43:44], s[14:15], -v[160:161]
	;; [unrolled: 5-line block ×5, first 2 shown]
	v_add_f64 v[2:3], v[4:5], v[2:3]
	v_fma_f64 v[4:5], v[37:38], s[36:37], v[178:179]
	s_delay_alu instid0(VALU_DEP_2)
	v_add_f64 v[96:97], v[6:7], v[2:3]
	scratch_load_b64 v[2:3], off, off offset:52 ; 8-byte Folded Reload
	v_add_f64 v[94:95], v[4:5], v[0:1]
	scratch_load_b64 v[4:5], off, off offset:36 ; 8-byte Folded Reload
	v_fma_f64 v[0:1], v[53:54], s[46:47], v[102:103]
	v_fma_f64 v[6:7], v[70:71], s[18:19], -v[128:129]
	s_waitcnt vmcnt(1)
	s_delay_alu instid0(VALU_DEP_2) | instskip(SKIP_2) | instid1(VALU_DEP_1)
	v_add_f64 v[0:1], v[0:1], v[2:3]
	v_fma_f64 v[2:3], v[51:52], s[16:17], -v[104:105]
	s_waitcnt vmcnt(0)
	v_add_f64 v[2:3], v[2:3], v[4:5]
	v_fma_f64 v[4:5], v[49:50], s[42:43], v[106:107]
	s_delay_alu instid0(VALU_DEP_1) | instskip(SKIP_1) | instid1(VALU_DEP_1)
	v_add_f64 v[0:1], v[4:5], v[0:1]
	v_fma_f64 v[4:5], v[47:48], s[12:13], -v[108:109]
	v_add_f64 v[2:3], v[4:5], v[2:3]
	v_fma_f64 v[4:5], v[45:46], s[34:35], v[110:111]
	s_delay_alu instid0(VALU_DEP_1) | instskip(SKIP_1) | instid1(VALU_DEP_1)
	v_add_f64 v[0:1], v[4:5], v[0:1]
	v_fma_f64 v[4:5], v[43:44], s[0:1], -v[112:113]
	;; [unrolled: 5-line block ×5, first 2 shown]
	v_add_f64 v[2:3], v[4:5], v[2:3]
	v_fma_f64 v[4:5], v[37:38], s[38:39], v[126:127]
	s_delay_alu instid0(VALU_DEP_2) | instskip(NEXT) | instid1(VALU_DEP_2)
	v_add_f64 v[104:105], v[6:7], v[2:3]
	v_add_f64 v[102:103], v[4:5], v[0:1]
	s_clause 0x3
	scratch_load_b64 v[0:1], off, off offset:68
	scratch_load_b64 v[6:7], off, off offset:108
	;; [unrolled: 1-line block ×4, first 2 shown]
	s_waitcnt vmcnt(3)
	v_fma_f64 v[0:1], v[53:54], s[30:31], v[0:1]
	s_waitcnt vmcnt(2)
	v_fma_f64 v[6:7], v[47:48], s[28:29], -v[6:7]
	s_waitcnt vmcnt(1)
	s_delay_alu instid0(VALU_DEP_2) | instskip(SKIP_4) | instid1(VALU_DEP_1)
	v_add_f64 v[0:1], v[0:1], v[4:5]
	scratch_load_b64 v[4:5], off, off offset:20 ; 8-byte Folded Reload
	s_waitcnt vmcnt(1)
	v_fma_f64 v[2:3], v[51:52], s[24:25], -v[2:3]
	s_waitcnt vmcnt(0)
	v_add_f64 v[2:3], v[2:3], v[4:5]
	scratch_load_b64 v[4:5], off, off offset:100 ; 8-byte Folded Reload
	v_add_f64 v[2:3], v[6:7], v[2:3]
	scratch_load_b64 v[6:7], off, off offset:124 ; 8-byte Folded Reload
	s_waitcnt vmcnt(1)
	v_fma_f64 v[4:5], v[49:50], s[40:41], v[4:5]
	s_delay_alu instid0(VALU_DEP_1) | instskip(SKIP_3) | instid1(VALU_DEP_1)
	v_add_f64 v[0:1], v[4:5], v[0:1]
	scratch_load_b64 v[4:5], off, off offset:116 ; 8-byte Folded Reload
	s_waitcnt vmcnt(1)
	v_fma_f64 v[6:7], v[43:44], s[16:17], -v[6:7]
	v_add_f64 v[2:3], v[6:7], v[2:3]
	scratch_load_b64 v[6:7], off, off offset:140 ; 8-byte Folded Reload
	s_waitcnt vmcnt(1)
	v_fma_f64 v[4:5], v[45:46], s[46:47], v[4:5]
	s_delay_alu instid0(VALU_DEP_1) | instskip(SKIP_3) | instid1(VALU_DEP_1)
	v_add_f64 v[0:1], v[4:5], v[0:1]
	scratch_load_b64 v[4:5], off, off offset:132 ; 8-byte Folded Reload
	s_waitcnt vmcnt(1)
	v_fma_f64 v[6:7], v[39:40], s[14:15], -v[6:7]
	v_add_f64 v[2:3], v[6:7], v[2:3]
	v_fma_f64 v[6:7], v[31:32], s[12:13], -v[84:85]
	s_delay_alu instid0(VALU_DEP_1) | instskip(SKIP_1) | instid1(VALU_DEP_1)
	v_add_f64 v[2:3], v[6:7], v[2:3]
	v_fma_f64 v[6:7], v[33:34], s[10:11], -v[88:89]
	v_add_f64 v[2:3], v[6:7], v[2:3]
	v_fma_f64 v[6:7], v[70:71], s[0:1], -v[92:93]
	s_delay_alu instid0(VALU_DEP_1) | instskip(SKIP_2) | instid1(VALU_DEP_1)
	v_add_f64 v[32:33], v[6:7], v[2:3]
	s_waitcnt vmcnt(0)
	v_fma_f64 v[4:5], v[41:42], s[44:45], v[4:5]
	v_add_f64 v[0:1], v[4:5], v[0:1]
	scratch_load_b64 v[4:5], off, off offset:148 ; 8-byte Folded Reload
	s_waitcnt vmcnt(0)
	v_fma_f64 v[4:5], v[35:36], s[42:43], v[4:5]
	s_delay_alu instid0(VALU_DEP_1) | instskip(SKIP_1) | instid1(VALU_DEP_1)
	v_add_f64 v[0:1], v[4:5], v[0:1]
	v_fma_f64 v[4:5], v[29:30], s[36:37], v[86:87]
	v_add_f64 v[0:1], v[4:5], v[0:1]
	v_fma_f64 v[4:5], v[37:38], s[34:35], v[90:91]
	s_delay_alu instid0(VALU_DEP_1) | instskip(SKIP_4) | instid1(VALU_DEP_1)
	v_add_f64 v[30:31], v[4:5], v[0:1]
	scratch_load_b32 v1, off, off           ; 4-byte Folded Reload
	v_mul_u32_u24_e32 v0, 0x770, v190
	s_waitcnt vmcnt(0)
	v_lshlrev_b32_e32 v29, 4, v1
	v_add3_u32 v0, 0, v0, v29
	ds_store_b128 v0, v[186:189]
	ds_store_b128 v0, v[72:75] offset:112
	ds_store_b128 v0, v[63:66] offset:224
	;; [unrolled: 1-line block ×16, first 2 shown]
	s_waitcnt lgkmcnt(0)
	s_waitcnt_vscnt null, 0x0
	s_barrier
	buffer_gl0_inv
	s_and_saveexec_b32 s33, s23
	s_cbranch_execz .LBB0_48
; %bb.47:
	v_mul_lo_u16 v0, v190, 31
	s_movk_i32 s23, 0x1000
	s_movk_i32 s33, 0xff0
	s_delay_alu instid0(VALU_DEP_1) | instskip(NEXT) | instid1(VALU_DEP_1)
	v_lshrrev_b16 v0, 9, v0
	v_mul_lo_u16 v0, v0, 17
	s_delay_alu instid0(VALU_DEP_1) | instskip(NEXT) | instid1(VALU_DEP_1)
	v_sub_nc_u16 v0, v190, v0
	v_and_b32_e32 v51, 0xff, v0
	v_mul_u32_u24_e32 v0, 0x70, v190
	s_delay_alu instid0(VALU_DEP_2) | instskip(NEXT) | instid1(VALU_DEP_2)
	v_lshlrev_b32_e32 v21, 8, v51
	v_add3_u32 v22, 0, v0, v29
	s_clause 0x7
	global_load_b128 v[1:4], v21, s[62:63] offset:112
	global_load_b128 v[17:20], v21, s[62:63] offset:128
	;; [unrolled: 1-line block ×8, first 2 shown]
	ds_load_b128 v[38:41], v22 offset:15232
	ds_load_b128 v[42:45], v22 offset:17136
	;; [unrolled: 1-line block ×4, first 2 shown]
	s_waitcnt vmcnt(7) lgkmcnt(3)
	v_mul_f64 v[27:28], v[38:39], v[3:4]
	v_mul_f64 v[3:4], v[40:41], v[3:4]
	s_waitcnt vmcnt(6) lgkmcnt(2)
	v_mul_f64 v[46:47], v[42:43], v[19:20]
	v_mul_f64 v[19:20], v[44:45], v[19:20]
	s_waitcnt vmcnt(5) lgkmcnt(1)
	v_mul_f64 v[57:58], v[59:60], v[15:16]
	v_fma_f64 v[74:75], v[40:41], v[1:2], v[27:28]
	v_fma_f64 v[76:77], v[38:39], v[1:2], -v[3:4]
	ds_load_b128 v[1:4], v22 offset:19040
	ds_load_b128 v[38:41], v22 offset:20944
	v_mul_f64 v[27:28], v[61:62], v[15:16]
	v_fma_f64 v[78:79], v[44:45], v[17:18], v[46:47]
	v_fma_f64 v[80:81], v[42:43], v[17:18], -v[19:20]
	global_load_b128 v[15:18], v21, s[62:63] offset:48
	v_fma_f64 v[82:83], v[61:62], v[13:14], v[57:58]
	s_waitcnt vmcnt(5) lgkmcnt(1)
	v_mul_f64 v[19:20], v[1:2], v[11:12]
	v_mul_f64 v[42:43], v[3:4], v[11:12]
	v_fma_f64 v[84:85], v[59:60], v[13:14], -v[27:28]
	s_waitcnt vmcnt(4)
	v_mul_f64 v[27:28], v[65:66], v[7:8]
	global_load_b128 v[11:14], v21, s[62:63] offset:192
	v_mul_f64 v[7:8], v[67:68], v[7:8]
	v_fma_f64 v[86:87], v[3:4], v[9:10], v[19:20]
	v_fma_f64 v[88:89], v[1:2], v[9:10], -v[42:43]
	s_waitcnt vmcnt(4) lgkmcnt(0)
	v_mul_f64 v[9:10], v[38:39], v[25:26]
	v_mul_f64 v[19:20], v[40:41], v[25:26]
	ds_load_b128 v[1:4], v22 offset:9520
	v_fma_f64 v[70:71], v[67:68], v[5:6], v[27:28]
	v_fma_f64 v[90:91], v[65:66], v[5:6], -v[7:8]
	ds_load_b128 v[5:8], v22 offset:7616
	s_waitcnt vmcnt(3) lgkmcnt(1)
	v_mul_f64 v[27:28], v[1:2], v[32:33]
	v_mul_f64 v[32:33], v[3:4], v[32:33]
	v_fma_f64 v[59:60], v[40:41], v[23:24], v[9:10]
	v_fma_f64 v[67:68], v[38:39], v[23:24], -v[19:20]
	global_load_b128 v[23:26], v21, s[62:63] offset:32
	ds_load_b128 v[38:41], v22 offset:22848
	v_fma_f64 v[92:93], v[3:4], v[30:31], v[27:28]
	v_fma_f64 v[94:95], v[1:2], v[30:31], -v[32:33]
	ds_load_b128 v[1:4], v22 offset:24752
	global_load_b128 v[27:30], v21, s[62:63] offset:208
	s_waitcnt vmcnt(4) lgkmcnt(1)
	v_mul_f64 v[9:10], v[38:39], v[36:37]
	v_mul_f64 v[19:20], v[40:41], v[36:37]
	s_delay_alu instid0(VALU_DEP_2) | instskip(NEXT) | instid1(VALU_DEP_2)
	v_fma_f64 v[55:56], v[40:41], v[34:35], v[9:10]
	v_fma_f64 v[63:64], v[38:39], v[34:35], -v[19:20]
	s_waitcnt vmcnt(3)
	v_mul_f64 v[9:10], v[5:6], v[17:18]
	v_mul_f64 v[17:18], v[7:8], v[17:18]
	s_delay_alu instid0(VALU_DEP_2) | instskip(SKIP_3) | instid1(VALU_DEP_4)
	v_fma_f64 v[102:103], v[7:8], v[15:16], v[9:10]
	s_waitcnt vmcnt(2) lgkmcnt(0)
	v_mul_f64 v[9:10], v[1:2], v[13:14]
	v_mul_f64 v[13:14], v[3:4], v[13:14]
	v_fma_f64 v[104:105], v[5:6], v[15:16], -v[17:18]
	ds_load_b128 v[5:8], v22 offset:5712
	v_fma_f64 v[52:53], v[3:4], v[11:12], v[9:10]
	v_fma_f64 v[96:97], v[1:2], v[11:12], -v[13:14]
	ds_load_b128 v[9:12], v22 offset:3808
	s_waitcnt vmcnt(1) lgkmcnt(1)
	v_mul_f64 v[0:1], v[5:6], v[25:26]
	v_mul_f64 v[2:3], v[7:8], v[25:26]
	s_delay_alu instid0(VALU_DEP_2) | instskip(NEXT) | instid1(VALU_DEP_2)
	v_fma_f64 v[110:111], v[7:8], v[23:24], v[0:1]
	v_fma_f64 v[112:113], v[5:6], v[23:24], -v[2:3]
	ds_load_b128 v[1:4], v22 offset:26656
	ds_load_b128 v[13:16], v22 offset:28560
	v_mul_lo_u32 v0, v69, v51
	s_waitcnt vmcnt(0) lgkmcnt(1)
	v_mul_f64 v[5:6], v[1:2], v[29:30]
	s_delay_alu instid0(VALU_DEP_1) | instskip(SKIP_1) | instid1(VALU_DEP_2)
	v_fma_f64 v[106:107], v[3:4], v[27:28], v[5:6]
	v_mul_f64 v[3:4], v[3:4], v[29:30]
	v_add_f64 v[244:245], v[110:111], v[106:107]
	s_delay_alu instid0(VALU_DEP_2)
	v_fma_f64 v[108:109], v[1:2], v[27:28], -v[3:4]
	s_clause 0x1
	global_load_b128 v[5:8], v21, s[62:63] offset:16
	global_load_b128 v[1:4], v21, s[62:63]
	s_waitcnt vmcnt(1)
	v_mul_f64 v[17:18], v[9:10], v[7:8]
	v_mul_f64 v[7:8], v[11:12], v[7:8]
	s_delay_alu instid0(VALU_DEP_2) | instskip(NEXT) | instid1(VALU_DEP_2)
	v_fma_f64 v[220:221], v[11:12], v[5:6], v[17:18]
	v_fma_f64 v[224:225], v[9:10], v[5:6], -v[7:8]
	s_clause 0x1
	global_load_b128 v[9:12], v21, s[62:63] offset:224
	global_load_b128 v[5:8], v21, s[62:63] offset:240
	s_waitcnt vmcnt(1) lgkmcnt(0)
	v_mul_f64 v[17:18], v[13:14], v[11:12]
	v_mul_f64 v[11:12], v[15:16], v[11:12]
	s_delay_alu instid0(VALU_DEP_2) | instskip(NEXT) | instid1(VALU_DEP_2)
	v_fma_f64 v[216:217], v[15:16], v[9:10], v[17:18]
	v_fma_f64 v[218:219], v[13:14], v[9:10], -v[11:12]
	ds_load_b128 v[9:12], v22 offset:1904
	ds_load_b128 v[17:20], v22
	s_waitcnt lgkmcnt(1)
	v_mul_f64 v[13:14], v[9:10], v[3:4]
	v_mul_f64 v[3:4], v[11:12], v[3:4]
	v_add_f64 v[250:251], v[220:221], v[216:217]
	s_delay_alu instid0(VALU_DEP_3) | instskip(NEXT) | instid1(VALU_DEP_3)
	v_fma_f64 v[234:235], v[11:12], v[1:2], v[13:14]
	v_fma_f64 v[236:237], v[9:10], v[1:2], -v[3:4]
	ds_load_b128 v[1:4], v22 offset:30464
	v_mul_f64 v[242:243], v[250:251], s[12:13]
	s_waitcnt vmcnt(0) lgkmcnt(0)
	v_mul_f64 v[9:10], v[1:2], v[7:8]
	s_delay_alu instid0(VALU_DEP_1) | instskip(SKIP_1) | instid1(VALU_DEP_2)
	v_fma_f64 v[226:227], v[3:4], v[5:6], v[9:10]
	v_mul_f64 v[3:4], v[3:4], v[7:8]
	v_add_f64 v[248:249], v[234:235], v[226:227]
	s_delay_alu instid0(VALU_DEP_2) | instskip(SKIP_4) | instid1(VALU_DEP_4)
	v_fma_f64 v[228:229], v[1:2], v[5:6], -v[3:4]
	v_lshrrev_b32_e32 v1, 4, v0
	v_and_b32_e32 v2, 0xff, v0
	v_lshrrev_b32_e32 v0, 12, v0
	v_add_f64 v[252:253], v[234:235], -v[226:227]
	v_and_or_b32 v1, 0xff0, v1, s23
	s_delay_alu instid0(VALU_DEP_4) | instskip(NEXT) | instid1(VALU_DEP_4)
	v_lshlrev_b32_e32 v5, 4, v2
	v_and_or_b32 v0, v0, s33, 0x2000
	s_clause 0x2
	global_load_b128 v[1:4], v1, s[8:9]
	global_load_b128 v[5:8], v5, s[8:9]
	;; [unrolled: 1-line block ×3, first 2 shown]
	v_add_nc_u32_e32 v0, 0x110, v51
	s_delay_alu instid0(VALU_DEP_1) | instskip(SKIP_4) | instid1(VALU_DEP_2)
	v_mul_lo_u32 v0, v69, v0
	v_mul_f64 v[240:241], v[248:249], s[28:29]
	s_waitcnt vmcnt(1)
	v_mul_f64 v[13:14], v[7:8], v[3:4]
	v_mul_f64 v[3:4], v[5:6], v[3:4]
	v_fma_f64 v[114:115], v[5:6], v[1:2], -v[13:14]
	s_delay_alu instid0(VALU_DEP_2) | instskip(SKIP_2) | instid1(VALU_DEP_2)
	v_fma_f64 v[150:151], v[7:8], v[1:2], v[3:4]
	v_add_nc_u32_e32 v1, 0xff, v51
	v_lshrrev_b32_e32 v2, 4, v0
	v_mul_lo_u32 v27, v69, v1
	v_and_b32_e32 v1, 0xff, v0
	v_lshrrev_b32_e32 v0, 12, v0
	s_delay_alu instid0(VALU_DEP_2) | instskip(SKIP_2) | instid1(VALU_DEP_4)
	v_lshlrev_b32_e32 v5, 4, v1
	v_and_or_b32 v1, 0xff0, v2, s23
	v_lshrrev_b32_e32 v2, 12, v27
	v_and_or_b32 v0, v0, s33, 0x2000
	s_delay_alu instid0(VALU_DEP_2)
	v_and_or_b32 v21, v2, s33, 0x2000
	s_clause 0x3
	global_load_b128 v[1:4], v1, s[8:9]
	global_load_b128 v[5:8], v5, s[8:9]
	global_load_b128 v[13:16], v0, s[8:9]
	global_load_b128 v[21:24], v21, s[8:9]
	v_and_b32_e32 v0, 0xff, v27
	s_delay_alu instid0(VALU_DEP_1) | instskip(SKIP_3) | instid1(VALU_DEP_2)
	v_lshlrev_b32_e32 v0, 4, v0
	s_waitcnt vmcnt(2)
	v_mul_f64 v[25:26], v[7:8], v[3:4]
	v_mul_f64 v[3:4], v[5:6], v[3:4]
	v_fma_f64 v[152:153], v[5:6], v[1:2], -v[25:26]
	s_delay_alu instid0(VALU_DEP_2) | instskip(SKIP_1) | instid1(VALU_DEP_1)
	v_fma_f64 v[154:155], v[7:8], v[1:2], v[3:4]
	v_lshrrev_b32_e32 v1, 4, v27
	v_and_or_b32 v5, 0xff0, v1, s23
	s_clause 0x1
	global_load_b128 v[1:4], v0, s[8:9]
	global_load_b128 v[5:8], v5, s[8:9]
	s_waitcnt vmcnt(0)
	v_mul_f64 v[25:26], v[3:4], v[7:8]
	s_delay_alu instid0(VALU_DEP_1) | instskip(SKIP_1) | instid1(VALU_DEP_1)
	v_fma_f64 v[156:157], v[1:2], v[5:6], -v[25:26]
	v_mul_f64 v[0:1], v[1:2], v[7:8]
	v_fma_f64 v[158:159], v[3:4], v[5:6], v[0:1]
	v_add_nc_u32_e32 v0, 0xee, v51
	v_add_nc_u32_e32 v1, 0xdd, v51
	s_delay_alu instid0(VALU_DEP_2) | instskip(NEXT) | instid1(VALU_DEP_2)
	v_mul_lo_u32 v0, v69, v0
	v_mul_lo_u32 v35, v69, v1
	s_delay_alu instid0(VALU_DEP_2) | instskip(SKIP_2) | instid1(VALU_DEP_3)
	v_and_b32_e32 v1, 0xff, v0
	v_lshrrev_b32_e32 v2, 4, v0
	v_lshrrev_b32_e32 v0, 12, v0
	v_lshlrev_b32_e32 v5, 4, v1
	s_delay_alu instid0(VALU_DEP_3) | instskip(SKIP_1) | instid1(VALU_DEP_4)
	v_and_or_b32 v1, 0xff0, v2, s23
	v_lshrrev_b32_e32 v2, 12, v35
	v_and_or_b32 v0, v0, s33, 0x2000
	s_delay_alu instid0(VALU_DEP_2)
	v_and_or_b32 v29, v2, s33, 0x2000
	s_clause 0x3
	global_load_b128 v[1:4], v1, s[8:9]
	global_load_b128 v[5:8], v5, s[8:9]
	global_load_b128 v[25:28], v0, s[8:9]
	global_load_b128 v[29:32], v29, s[8:9]
	v_and_b32_e32 v0, 0xff, v35
	s_delay_alu instid0(VALU_DEP_1) | instskip(SKIP_3) | instid1(VALU_DEP_2)
	v_lshlrev_b32_e32 v0, 4, v0
	s_waitcnt vmcnt(2)
	v_mul_f64 v[33:34], v[7:8], v[3:4]
	v_mul_f64 v[3:4], v[5:6], v[3:4]
	v_fma_f64 v[160:161], v[5:6], v[1:2], -v[33:34]
	s_delay_alu instid0(VALU_DEP_2) | instskip(SKIP_1) | instid1(VALU_DEP_1)
	v_fma_f64 v[162:163], v[7:8], v[1:2], v[3:4]
	v_lshrrev_b32_e32 v1, 4, v35
	v_and_or_b32 v5, 0xff0, v1, s23
	s_clause 0x1
	global_load_b128 v[1:4], v0, s[8:9]
	global_load_b128 v[5:8], v5, s[8:9]
	s_waitcnt vmcnt(0)
	v_mul_f64 v[33:34], v[3:4], v[7:8]
	s_delay_alu instid0(VALU_DEP_1) | instskip(SKIP_1) | instid1(VALU_DEP_1)
	v_fma_f64 v[164:165], v[1:2], v[5:6], -v[33:34]
	v_mul_f64 v[0:1], v[1:2], v[7:8]
	v_fma_f64 v[166:167], v[3:4], v[5:6], v[0:1]
	v_add_nc_u32_e32 v0, 0xcc, v51
	v_add_nc_u32_e32 v1, 0xbb, v51
	s_delay_alu instid0(VALU_DEP_2) | instskip(NEXT) | instid1(VALU_DEP_2)
	v_mul_lo_u32 v0, v69, v0
	v_mul_lo_u32 v43, v69, v1
	s_delay_alu instid0(VALU_DEP_2) | instskip(SKIP_2) | instid1(VALU_DEP_3)
	v_and_b32_e32 v1, 0xff, v0
	v_lshrrev_b32_e32 v2, 4, v0
	v_lshrrev_b32_e32 v0, 12, v0
	v_lshlrev_b32_e32 v5, 4, v1
	s_delay_alu instid0(VALU_DEP_3) | instskip(SKIP_1) | instid1(VALU_DEP_4)
	;; [unrolled: 41-line block ×6, first 2 shown]
	v_and_or_b32 v1, 0xff0, v2, s23
	v_lshrrev_b32_e32 v2, 12, v49
	v_and_or_b32 v0, v0, s33, 0x2000
	s_delay_alu instid0(VALU_DEP_2)
	v_and_or_b32 v50, v2, s33, 0x2000
	s_clause 0x3
	global_load_b128 v[1:4], v1, s[8:9]
	global_load_b128 v[5:8], v5, s[8:9]
	;; [unrolled: 1-line block ×4, first 2 shown]
	v_and_b32_e32 v0, 0xff, v49
	s_delay_alu instid0(VALU_DEP_1) | instskip(SKIP_3) | instid1(VALU_DEP_2)
	v_lshlrev_b32_e32 v0, 4, v0
	s_waitcnt vmcnt(2)
	v_mul_f64 v[116:117], v[7:8], v[3:4]
	v_mul_f64 v[3:4], v[5:6], v[3:4]
	v_fma_f64 v[202:203], v[5:6], v[1:2], -v[116:117]
	s_delay_alu instid0(VALU_DEP_2) | instskip(SKIP_1) | instid1(VALU_DEP_1)
	v_fma_f64 v[204:205], v[7:8], v[1:2], v[3:4]
	v_lshrrev_b32_e32 v1, 4, v49
	v_and_or_b32 v5, 0xff0, v1, s23
	s_clause 0x1
	global_load_b128 v[1:4], v0, s[8:9]
	global_load_b128 v[5:8], v5, s[8:9]
	scratch_store_b32 off, v51, off offset:100 ; 4-byte Folded Spill
	s_waitcnt vmcnt(0)
	v_mul_f64 v[116:117], v[3:4], v[7:8]
	s_delay_alu instid0(VALU_DEP_1) | instskip(SKIP_1) | instid1(VALU_DEP_1)
	v_fma_f64 v[206:207], v[1:2], v[5:6], -v[116:117]
	v_mul_f64 v[0:1], v[1:2], v[7:8]
	v_fma_f64 v[208:209], v[3:4], v[5:6], v[0:1]
	v_add_nc_u32_e32 v0, 34, v51
	v_add_nc_u32_e32 v1, 17, v51
	s_delay_alu instid0(VALU_DEP_2) | instskip(NEXT) | instid1(VALU_DEP_2)
	v_mul_lo_u32 v0, v69, v0
	v_mul_lo_u32 v49, v69, v1
	s_delay_alu instid0(VALU_DEP_2) | instskip(SKIP_2) | instid1(VALU_DEP_3)
	v_and_b32_e32 v1, 0xff, v0
	v_lshrrev_b32_e32 v2, 4, v0
	v_lshrrev_b32_e32 v0, 12, v0
	v_lshlrev_b32_e32 v5, 4, v1
	s_delay_alu instid0(VALU_DEP_3) | instskip(SKIP_1) | instid1(VALU_DEP_4)
	v_and_or_b32 v1, 0xff0, v2, s23
	v_lshrrev_b32_e32 v2, 12, v49
	v_and_or_b32 v0, v0, s33, 0x2000
	s_delay_alu instid0(VALU_DEP_2)
	v_and_or_b32 v50, v2, s33, 0x2000
	s_clause 0x3
	global_load_b128 v[1:4], v1, s[8:9]
	global_load_b128 v[5:8], v5, s[8:9]
	;; [unrolled: 1-line block ×4, first 2 shown]
	v_and_b32_e32 v0, 0xff, v49
	s_delay_alu instid0(VALU_DEP_1) | instskip(SKIP_3) | instid1(VALU_DEP_2)
	v_lshlrev_b32_e32 v0, 4, v0
	s_waitcnt vmcnt(2)
	v_mul_f64 v[116:117], v[7:8], v[3:4]
	v_mul_f64 v[3:4], v[5:6], v[3:4]
	v_fma_f64 v[210:211], v[5:6], v[1:2], -v[116:117]
	s_delay_alu instid0(VALU_DEP_2) | instskip(SKIP_2) | instid1(VALU_DEP_2)
	v_fma_f64 v[212:213], v[7:8], v[1:2], v[3:4]
	v_lshrrev_b32_e32 v1, 4, v49
	v_add_f64 v[49:50], v[110:111], -v[106:107]
	v_and_or_b32 v5, 0xff0, v1, s23
	s_clause 0x1
	global_load_b128 v[1:4], v0, s[8:9]
	global_load_b128 v[5:8], v5, s[8:9]
	s_waitcnt vmcnt(0)
	v_mul_f64 v[116:117], v[3:4], v[7:8]
	s_delay_alu instid0(VALU_DEP_1) | instskip(SKIP_2) | instid1(VALU_DEP_2)
	v_fma_f64 v[214:215], v[1:2], v[5:6], -v[116:117]
	v_mul_f64 v[0:1], v[1:2], v[7:8]
	v_mul_f64 v[7:8], v[158:159], v[23:24]
	v_fma_f64 v[0:1], v[3:4], v[5:6], v[0:1]
	v_mul_f64 v[2:3], v[114:115], v[11:12]
	s_delay_alu instid0(VALU_DEP_3) | instskip(SKIP_4) | instid1(VALU_DEP_4)
	v_fma_f64 v[72:73], v[21:22], v[156:157], -v[7:8]
	v_mul_f64 v[7:8], v[156:157], v[23:24]
	v_mul_f64 v[23:24], v[170:171], v[35:36]
	v_mul_f64 v[156:157], v[252:253], s[46:47]
	v_fma_f64 v[2:3], v[9:10], v[150:151], v[2:3]
	v_fma_f64 v[7:8], v[21:22], v[158:159], v[7:8]
	s_delay_alu instid0(VALU_DEP_4)
	v_fma_f64 v[61:62], v[33:34], v[168:169], -v[23:24]
	v_mul_f64 v[23:24], v[168:169], v[35:36]
	v_mul_f64 v[35:36], v[180:181], v[47:48]
	scratch_store_b64 off, v[2:3], off offset:116 ; 8-byte Folded Spill
	v_mul_f64 v[2:3], v[150:151], v[11:12]
	v_mul_f64 v[11:12], v[162:163], v[27:28]
	v_fma_f64 v[200:201], v[45:46], v[182:183], v[35:36]
	v_mul_f64 v[35:36], v[244:245], s[16:17]
	s_delay_alu instid0(VALU_DEP_4) | instskip(NEXT) | instid1(VALU_DEP_4)
	v_fma_f64 v[2:3], v[9:10], v[114:115], -v[2:3]
	v_fma_f64 v[21:22], v[25:26], v[160:161], -v[11:12]
	v_mul_f64 v[11:12], v[160:161], v[27:28]
	v_mul_f64 v[27:28], v[174:175], v[39:40]
	scratch_store_b64 off, v[2:3], off offset:108 ; 8-byte Folded Spill
	v_mul_f64 v[2:3], v[154:155], v[15:16]
	v_fma_f64 v[100:101], v[37:38], v[172:173], -v[27:28]
	v_mul_f64 v[27:28], v[172:173], v[39:40]
	v_mul_f64 v[39:40], v[252:253], s[36:37]
	s_delay_alu instid0(VALU_DEP_4) | instskip(SKIP_4) | instid1(VALU_DEP_4)
	v_fma_f64 v[65:66], v[13:14], v[152:153], -v[2:3]
	v_mul_f64 v[2:3], v[152:153], v[15:16]
	v_mul_f64 v[15:16], v[166:167], v[31:32]
	v_fma_f64 v[98:99], v[37:38], v[174:175], v[27:28]
	v_mul_f64 v[37:38], v[182:183], v[47:48]
	v_fma_f64 v[57:58], v[13:14], v[154:155], v[2:3]
	v_fma_f64 v[12:13], v[25:26], v[162:163], v[11:12]
	v_fma_f64 v[25:26], v[29:30], v[164:165], -v[15:16]
	v_mul_f64 v[15:16], v[164:165], v[31:32]
	v_fma_f64 v[162:163], v[33:34], v[170:171], v[23:24]
	v_mul_f64 v[31:32], v[176:177], v[43:44]
	v_mul_f64 v[33:34], v[178:179], v[43:44]
	v_fma_f64 v[246:247], v[45:46], v[180:181], -v[37:38]
	v_mul_f64 v[37:38], v[184:185], v[120:121]
	v_mul_f64 v[45:46], v[192:193], v[128:129]
	v_fma_f64 v[15:16], v[29:30], v[166:167], v[15:16]
	v_fma_f64 v[166:167], v[41:42], v[178:179], v[31:32]
	v_fma_f64 v[168:169], v[41:42], v[176:177], -v[33:34]
	v_mul_f64 v[41:42], v[188:189], v[124:125]
	v_fma_f64 v[222:223], v[118:119], v[186:187], v[37:38]
	v_mul_f64 v[37:38], v[186:187], v[120:121]
	v_add_f64 v[186:187], v[82:83], v[86:87]
	v_mul_f64 v[33:34], v[49:50], s[46:47]
	v_fma_f64 v[232:233], v[122:123], v[190:191], v[41:42]
	v_mul_f64 v[41:42], v[190:191], v[124:125]
	v_fma_f64 v[230:231], v[118:119], v[184:185], -v[37:38]
	v_mul_f64 v[118:119], v[196:197], v[132:133]
	v_add_f64 v[190:191], v[76:77], -v[80:81]
	s_delay_alu instid0(VALU_DEP_4)
	v_fma_f64 v[2:3], v[122:123], v[188:189], -v[41:42]
	scratch_store_b64 off, v[2:3], off offset:716 ; 8-byte Folded Spill
	v_fma_f64 v[2:3], v[126:127], v[194:195], v[45:46]
	v_mul_f64 v[45:46], v[194:195], v[128:129]
	v_mul_f64 v[128:129], v[244:245], s[14:15]
	scratch_store_b64 off, v[2:3], off offset:668 ; 8-byte Folded Spill
	v_fma_f64 v[2:3], v[126:127], v[192:193], -v[45:46]
	v_add_f64 v[126:127], v[236:237], -v[228:229]
	scratch_store_b64 off, v[2:3], off offset:652 ; 8-byte Folded Spill
	v_fma_f64 v[2:3], v[130:131], v[198:199], v[118:119]
	v_mul_f64 v[118:119], v[198:199], v[132:133]
	scratch_store_b64 off, v[2:3], off offset:588 ; 8-byte Folded Spill
	v_fma_f64 v[2:3], v[130:131], v[196:197], -v[118:119]
	v_mul_f64 v[118:119], v[202:203], v[136:137]
	v_add_f64 v[130:131], v[224:225], -v[218:219]
	scratch_store_b64 off, v[2:3], off offset:580 ; 8-byte Folded Spill
	v_fma_f64 v[2:3], v[134:135], v[204:205], v[118:119]
	v_mul_f64 v[118:119], v[204:205], v[136:137]
	v_mul_f64 v[136:137], v[250:251], s[0:1]
	scratch_store_b64 off, v[2:3], off offset:572 ; 8-byte Folded Spill
	v_fma_f64 v[2:3], v[134:135], v[202:203], -v[118:119]
	v_mul_f64 v[118:119], v[206:207], v[140:141]
	scratch_store_b64 off, v[2:3], off offset:564 ; 8-byte Folded Spill
	v_fma_f64 v[2:3], v[138:139], v[208:209], v[118:119]
	v_mul_f64 v[118:119], v[208:209], v[140:141]
	v_mul_f64 v[208:209], v[186:187], s[16:17]
	scratch_store_b64 off, v[2:3], off offset:500 ; 8-byte Folded Spill
	v_fma_f64 v[2:3], v[138:139], v[206:207], -v[118:119]
	v_mul_f64 v[118:119], v[210:211], v[144:145]
	scratch_store_b64 off, v[2:3], off offset:492 ; 8-byte Folded Spill
	v_fma_f64 v[2:3], v[142:143], v[212:213], v[118:119]
	v_mul_f64 v[118:119], v[212:213], v[144:145]
	scratch_store_b64 off, v[2:3], off offset:324 ; 8-byte Folded Spill
	v_fma_f64 v[2:3], v[142:143], v[210:211], -v[118:119]
	v_mul_f64 v[118:119], v[214:215], v[148:149]
	scratch_store_b64 off, v[2:3], off offset:316 ; 8-byte Folded Spill
	v_fma_f64 v[2:3], v[146:147], v[0:1], v[118:119]
	v_mul_f64 v[0:1], v[0:1], v[148:149]
	scratch_store_b64 off, v[2:3], off offset:188 ; 8-byte Folded Spill
	v_fma_f64 v[0:1], v[146:147], v[214:215], -v[0:1]
	s_clause 0x2
	scratch_store_b64 off, v[0:1], off offset:180
	scratch_store_b64 off, v[226:227], off offset:132
	;; [unrolled: 1-line block ×3, first 2 shown]
	v_mul_f64 v[0:1], v[248:249], s[18:19]
	s_clause 0x1
	scratch_store_b64 off, v[228:229], off offset:140
	scratch_store_b64 off, v[236:237], off offset:212
	v_mul_f64 v[2:3], v[250:251], s[24:25]
	v_add_f64 v[234:235], v[74:75], v[78:79]
	scratch_store_b64 off, v[0:1], off offset:340 ; 8-byte Folded Spill
	v_fma_f64 v[0:1], v[126:127], s[38:39], v[0:1]
	v_fma_f64 v[134:135], v[130:131], s[54:55], v[2:3]
	s_clause 0x5
	scratch_store_b64 off, v[216:217], off offset:148
	scratch_store_b64 off, v[220:221], off offset:220
	;; [unrolled: 1-line block ×5, first 2 shown]
	scratch_store_b32 off, v255, off offset:124
	v_mul_f64 v[2:3], v[252:253], s[26:27]
	v_add_f64 v[254:255], v[220:221], -v[216:217]
	v_mul_f64 v[188:189], v[234:235], s[10:11]
	v_mul_f64 v[116:117], v[234:235], s[24:25]
	v_add_f64 v[0:1], v[19:20], v[0:1]
	scratch_store_b64 off, v[2:3], off offset:388 ; 8-byte Folded Spill
	v_mul_f64 v[152:153], v[254:255], s[34:35]
	v_mul_f64 v[37:38], v[254:255], s[48:49]
	v_add_f64 v[0:1], v[134:135], v[0:1]
	v_add_f64 v[134:135], v[236:237], v[228:229]
	s_delay_alu instid0(VALU_DEP_1) | instskip(SKIP_1) | instid1(VALU_DEP_2)
	v_fma_f64 v[138:139], v[134:135], s[18:19], v[2:3]
	v_mul_f64 v[2:3], v[254:255], s[30:31]
	v_add_f64 v[142:143], v[17:18], v[138:139]
	v_add_f64 v[138:139], v[224:225], v[218:219]
	s_clause 0x4
	scratch_store_b64 off, v[2:3], off offset:404
	scratch_store_b64 off, v[106:107], off offset:164
	scratch_store_b64 off, v[110:111], off offset:244
	scratch_store_b64 off, v[108:109], off offset:172
	scratch_store_b64 off, v[112:113], off offset:252
	v_mul_f64 v[106:107], v[252:253], s[44:45]
	v_fma_f64 v[144:145], v[138:139], s[24:25], v[2:3]
	v_mul_f64 v[2:3], v[244:245], s[28:29]
	s_delay_alu instid0(VALU_DEP_2)
	v_add_f64 v[146:147], v[144:145], v[142:143]
	v_add_f64 v[142:143], v[112:113], -v[108:109]
	scratch_store_b64 off, v[2:3], off offset:420 ; 8-byte Folded Spill
	v_mul_f64 v[144:145], v[248:249], s[16:17]
	v_fma_f64 v[148:149], v[142:143], s[48:49], v[2:3]
	v_mul_f64 v[2:3], v[49:50], s[40:41]
	s_delay_alu instid0(VALU_DEP_2)
	v_add_f64 v[0:1], v[148:149], v[0:1]
	v_add_f64 v[148:149], v[112:113], v[108:109]
	scratch_store_b64 off, v[2:3], off offset:452 ; 8-byte Folded Spill
	v_mul_f64 v[108:109], v[186:187], s[12:13]
	v_fma_f64 v[150:151], v[148:149], s[28:29], v[2:3]
	v_dual_mov_b32 v2, v52 :: v_dual_mov_b32 v3, v53
	s_clause 0x1
	scratch_store_b64 off, v[2:3], off offset:204
	scratch_store_b64 off, v[102:103], off offset:276
	v_add_f64 v[51:52], v[102:103], v[2:3]
	v_add_f64 v[53:54], v[102:103], -v[2:3]
	s_clause 0x1
	scratch_store_b64 off, v[96:97], off offset:228
	scratch_store_b64 off, v[104:105], off offset:284
	v_mul_f64 v[102:103], v[49:50], s[54:55]
	v_add_f64 v[158:159], v[150:151], v[146:147]
	v_add_f64 v[146:147], v[104:105], -v[96:97]
	v_mul_f64 v[150:151], v[49:50], s[50:51]
	v_mul_f64 v[4:5], v[51:52], s[16:17]
	;; [unrolled: 1-line block ×9, first 2 shown]
	v_fma_f64 v[154:155], v[146:147], s[60:61], v[4:5]
	s_clause 0x1
	scratch_store_b64 off, v[4:5], off offset:460
	scratch_store_b64 off, v[2:3], off offset:476
	v_dual_mov_b32 v4, v63 :: v_dual_mov_b32 v5, v64
	v_add_f64 v[0:1], v[154:155], v[0:1]
	v_add_f64 v[154:155], v[104:105], v[96:97]
	v_fma_f64 v[96:97], v[190:191], s[52:53], v[188:189]
	v_mul_f64 v[104:105], v[254:255], s[52:53]
	s_delay_alu instid0(VALU_DEP_3)
	v_fma_f64 v[160:161], v[154:155], s[16:17], v[2:3]
	v_dual_mov_b32 v2, v55 :: v_dual_mov_b32 v3, v56
	s_clause 0x1
	scratch_store_b64 off, v[2:3], off offset:260
	scratch_store_b64 off, v[92:93], off offset:300
	v_add_f64 v[55:56], v[92:93], v[2:3]
	v_add_f64 v[63:64], v[92:93], -v[2:3]
	s_clause 0x1
	scratch_store_b64 off, v[4:5], off offset:268
	scratch_store_b64 off, v[94:95], off offset:332
	v_add_f64 v[170:171], v[160:161], v[158:159]
	v_add_f64 v[158:159], v[94:95], -v[4:5]
	v_mul_f64 v[9:10], v[55:56], s[14:15]
	v_mul_f64 v[2:3], v[63:64], s[44:45]
	v_mul_f64 v[180:181], v[55:56], s[24:25]
	v_mul_f64 v[216:217], v[63:64], s[54:55]
	v_mul_f64 v[114:115], v[55:56], s[28:29]
	v_mul_f64 v[132:133], v[63:64], s[40:41]
	v_mul_f64 v[43:44], v[55:56], s[16:17]
	v_mul_f64 v[41:42], v[63:64], s[60:61]
	v_fma_f64 v[164:165], v[158:159], s[50:51], v[9:10]
	scratch_store_b64 off, v[2:3], off offset:508 ; 8-byte Folded Spill
	v_add_f64 v[0:1], v[164:165], v[0:1]
	v_add_f64 v[164:165], v[94:95], v[4:5]
	s_delay_alu instid0(VALU_DEP_1)
	v_fma_f64 v[172:173], v[164:165], s[14:15], v[2:3]
	v_dual_mov_b32 v2, v70 :: v_dual_mov_b32 v3, v71
	s_clause 0x2
	scratch_store_b64 off, v[59:60], off offset:292
	scratch_store_b64 off, v[9:10], off offset:484
	;; [unrolled: 1-line block ×3, first 2 shown]
	v_add_f64 v[69:70], v[2:3], v[59:60]
	v_add_f64 v[10:11], v[2:3], -v[59:60]
	s_clause 0x1
	scratch_store_b64 off, v[67:68], off offset:308
	scratch_store_b64 off, v[90:91], off offset:372
	v_add_f64 v[178:179], v[172:173], v[170:171]
	v_add_f64 v[170:171], v[90:91], -v[67:68]
	v_mul_f64 v[4:5], v[69:70], s[12:13]
	v_mul_f64 v[2:3], v[10:11], s[42:43]
	;; [unrolled: 1-line block ×6, first 2 shown]
	v_fma_f64 v[174:175], v[170:171], s[58:59], v[4:5]
	s_clause 0x1
	scratch_store_b64 off, v[4:5], off offset:516
	scratch_store_b64 off, v[2:3], off offset:524
	v_add_f64 v[4:5], v[82:83], -v[86:87]
	s_clause 0x3
	scratch_store_b64 off, v[82:83], off offset:396
	scratch_store_b64 off, v[86:87], off offset:364
	;; [unrolled: 1-line block ×4, first 2 shown]
	v_fma_f64 v[82:83], v[158:159], s[30:31], v[180:181]
	v_fma_f64 v[86:87], v[170:171], s[38:39], v[176:177]
	v_add_f64 v[0:1], v[174:175], v[0:1]
	v_add_f64 v[174:175], v[90:91], v[67:68]
	v_mul_f64 v[120:121], v[4:5], s[58:59]
	s_delay_alu instid0(VALU_DEP_2) | instskip(SKIP_1) | instid1(VALU_DEP_2)
	v_fma_f64 v[59:60], v[174:175], s[12:13], v[2:3]
	v_mul_f64 v[2:3], v[186:187], s[10:11]
	v_add_f64 v[59:60], v[59:60], v[178:179]
	v_add_f64 v[178:179], v[84:85], -v[88:89]
	s_delay_alu instid0(VALU_DEP_1) | instskip(SKIP_1) | instid1(VALU_DEP_2)
	v_fma_f64 v[182:183], v[178:179], s[52:53], v[2:3]
	v_fma_f64 v[90:91], v[178:179], s[60:61], v[208:209]
	v_add_f64 v[202:203], v[182:183], v[0:1]
	v_add_f64 v[182:183], v[84:85], v[88:89]
	v_mul_f64 v[0:1], v[4:5], s[36:37]
	scratch_store_b64 off, v[2:3], off offset:532 ; 8-byte Folded Spill
	v_add_f64 v[2:3], v[74:75], -v[78:79]
	v_fma_f64 v[84:85], v[164:165], s[24:25], v[216:217]
	v_fma_f64 v[112:113], v[182:183], s[12:13], v[120:121]
	scratch_store_b64 off, v[0:1], off offset:540 ; 8-byte Folded Spill
	v_fma_f64 v[184:185], v[182:183], s[10:11], v[0:1]
	v_mul_f64 v[0:1], v[2:3], s[34:35]
	s_clause 0x3
	scratch_store_b64 off, v[74:75], off offset:444
	scratch_store_b64 off, v[78:79], off offset:428
	scratch_store_b64 off, v[76:77], off offset:468
	scratch_store_b64 off, v[80:81], off offset:436
	v_fma_f64 v[78:79], v[146:147], s[44:45], v[210:211]
	v_mul_f64 v[192:193], v[2:3], s[36:37]
	v_mul_f64 v[118:119], v[2:3], s[54:55]
	v_add_f64 v[59:60], v[184:185], v[59:60]
	v_add_f64 v[184:185], v[76:77], v[80:81]
	scratch_store_b64 off, v[0:1], off offset:548 ; 8-byte Folded Spill
	v_fma_f64 v[67:68], v[184:185], s[0:1], v[0:1]
	v_mul_f64 v[0:1], v[234:235], s[0:1]
	v_fma_f64 v[94:95], v[184:185], s[10:11], v[192:193]
	s_delay_alu instid0(VALU_DEP_3) | instskip(NEXT) | instid1(VALU_DEP_3)
	v_add_f64 v[59:60], v[67:68], v[59:60]
	v_fma_f64 v[67:68], v[190:191], s[56:57], v[0:1]
	scratch_store_b64 off, v[0:1], off offset:556 ; 8-byte Folded Spill
	v_mul_f64 v[0:1], v[248:249], s[24:25]
	v_add_f64 v[67:68], v[67:68], v[202:203]
	v_mul_f64 v[202:203], v[59:60], v[57:58]
	scratch_store_b64 off, v[0:1], off offset:620 ; 8-byte Folded Spill
	v_mul_f64 v[57:58], v[67:68], v[57:58]
	v_fma_f64 v[29:30], v[67:68], v[65:66], v[202:203]
	v_mul_f64 v[67:68], v[250:251], s[14:15]
	s_delay_alu instid0(VALU_DEP_3) | instskip(SKIP_3) | instid1(VALU_DEP_3)
	v_fma_f64 v[27:28], v[59:60], v[65:66], -v[57:58]
	v_fma_f64 v[57:58], v[126:127], s[54:55], v[0:1]
	v_mul_f64 v[0:1], v[250:251], s[16:17]
	v_fma_f64 v[65:66], v[174:175], s[10:11], v[124:125]
	v_add_f64 v[57:58], v[19:20], v[57:58]
	scratch_store_b64 off, v[0:1], off offset:628 ; 8-byte Folded Spill
	v_fma_f64 v[59:60], v[130:131], s[60:61], v[0:1]
	v_mul_f64 v[0:1], v[252:253], s[30:31]
	s_delay_alu instid0(VALU_DEP_2) | instskip(SKIP_3) | instid1(VALU_DEP_2)
	v_add_f64 v[57:58], v[59:60], v[57:58]
	scratch_store_b64 off, v[0:1], off offset:596 ; 8-byte Folded Spill
	v_fma_f64 v[59:60], v[134:135], s[24:25], v[0:1]
	v_mul_f64 v[0:1], v[254:255], s[46:47]
	v_add_f64 v[59:60], v[17:18], v[59:60]
	scratch_store_b64 off, v[0:1], off offset:604 ; 8-byte Folded Spill
	v_fma_f64 v[206:207], v[138:139], s[16:17], v[0:1]
	v_mul_f64 v[0:1], v[244:245], s[12:13]
	s_delay_alu instid0(VALU_DEP_2) | instskip(SKIP_3) | instid1(VALU_DEP_2)
	v_add_f64 v[59:60], v[206:207], v[59:60]
	scratch_store_b64 off, v[0:1], off offset:660 ; 8-byte Folded Spill
	v_fma_f64 v[206:207], v[142:143], s[58:59], v[0:1]
	v_mul_f64 v[0:1], v[49:50], s[42:43]
	v_add_f64 v[57:58], v[206:207], v[57:58]
	scratch_store_b64 off, v[0:1], off offset:612 ; 8-byte Folded Spill
	v_fma_f64 v[212:213], v[148:149], s[12:13], v[0:1]
	v_mul_f64 v[0:1], v[51:52], s[0:1]
	v_mul_f64 v[206:207], v[4:5], s[46:47]
	s_delay_alu instid0(VALU_DEP_3) | instskip(SKIP_4) | instid1(VALU_DEP_3)
	v_add_f64 v[59:60], v[212:213], v[59:60]
	scratch_store_b64 off, v[0:1], off offset:692 ; 8-byte Folded Spill
	v_fma_f64 v[212:213], v[146:147], s[56:57], v[0:1]
	v_mul_f64 v[0:1], v[53:54], s[34:35]
	v_fma_f64 v[92:93], v[182:183], s[16:17], v[206:207]
	v_add_f64 v[57:58], v[212:213], v[57:58]
	scratch_store_b64 off, v[0:1], off offset:636 ; 8-byte Folded Spill
	v_fma_f64 v[214:215], v[154:155], s[0:1], v[0:1]
	v_mul_f64 v[0:1], v[55:56], s[10:11]
	v_mul_f64 v[212:213], v[10:11], s[26:27]
	s_delay_alu instid0(VALU_DEP_3) | instskip(SKIP_4) | instid1(VALU_DEP_3)
	v_add_f64 v[59:60], v[214:215], v[59:60]
	scratch_store_b64 off, v[0:1], off offset:700 ; 8-byte Folded Spill
	v_fma_f64 v[214:215], v[158:159], s[36:37], v[0:1]
	v_mul_f64 v[0:1], v[63:64], s[52:53]
	v_fma_f64 v[88:89], v[174:175], s[18:19], v[212:213]
	v_add_f64 v[57:58], v[214:215], v[57:58]
	scratch_store_b64 off, v[0:1], off offset:644 ; 8-byte Folded Spill
	v_fma_f64 v[218:219], v[164:165], s[10:11], v[0:1]
	v_mul_f64 v[0:1], v[69:70], s[14:15]
	v_mul_f64 v[214:215], v[244:245], s[0:1]
	s_delay_alu instid0(VALU_DEP_3) | instskip(SKIP_3) | instid1(VALU_DEP_2)
	v_add_f64 v[59:60], v[218:219], v[59:60]
	scratch_store_b64 off, v[0:1], off offset:708 ; 8-byte Folded Spill
	v_fma_f64 v[218:219], v[170:171], s[44:45], v[0:1]
	v_mul_f64 v[0:1], v[10:11], s[50:51]
	v_add_f64 v[57:58], v[218:219], v[57:58]
	scratch_store_b64 off, v[0:1], off offset:676 ; 8-byte Folded Spill
	v_fma_f64 v[220:221], v[174:175], s[14:15], v[0:1]
	v_mul_f64 v[0:1], v[186:187], s[28:29]
	v_mul_f64 v[218:219], v[53:54], s[50:51]
	s_delay_alu instid0(VALU_DEP_3) | instskip(NEXT) | instid1(VALU_DEP_3)
	v_add_f64 v[59:60], v[220:221], v[59:60]
	v_fma_f64 v[224:225], v[178:179], s[40:41], v[0:1]
	v_mul_f64 v[220:221], v[252:253], s[40:41]
	s_delay_alu instid0(VALU_DEP_4) | instskip(SKIP_3) | instid1(VALU_DEP_1)
	v_fma_f64 v[80:81], v[154:155], s[14:15], v[218:219]
	scratch_store_b64 off, v[0:1], off offset:684 ; 8-byte Folded Spill
	v_add_f64 v[57:58], v[224:225], v[57:58]
	v_mul_f64 v[224:225], v[4:5], s[48:49]
	v_fma_f64 v[226:227], v[182:183], s[28:29], v[224:225]
	s_delay_alu instid0(VALU_DEP_1) | instskip(SKIP_1) | instid1(VALU_DEP_1)
	v_add_f64 v[59:60], v[226:227], v[59:60]
	v_mul_f64 v[226:227], v[2:3], s[38:39]
	v_fma_f64 v[228:229], v[184:185], s[18:19], v[226:227]
	s_delay_alu instid0(VALU_DEP_1) | instskip(SKIP_1) | instid1(VALU_DEP_1)
	v_add_f64 v[236:237], v[228:229], v[59:60]
	v_mul_f64 v[228:229], v[234:235], s[18:19]
	v_fma_f64 v[59:60], v[190:191], s[26:27], v[228:229]
	s_delay_alu instid0(VALU_DEP_1) | instskip(NEXT) | instid1(VALU_DEP_4)
	v_add_f64 v[57:58], v[59:60], v[57:58]
	v_mul_f64 v[59:60], v[236:237], v[7:8]
	s_delay_alu instid0(VALU_DEP_2) | instskip(NEXT) | instid1(VALU_DEP_2)
	v_mul_f64 v[6:7], v[57:58], v[7:8]
	v_fma_f64 v[8:9], v[57:58], v[72:73], v[59:60]
	v_mul_f64 v[59:60], v[244:245], s[18:19]
	v_mul_f64 v[57:58], v[49:50], s[26:27]
	s_delay_alu instid0(VALU_DEP_4)
	v_fma_f64 v[6:7], v[236:237], v[72:73], -v[6:7]
	v_fma_f64 v[236:237], v[134:135], s[28:29], v[220:221]
	scratch_store_b128 off, v[27:30], off offset:4 ; 16-byte Folded Spill
	v_mul_f64 v[29:30], v[53:54], s[58:59]
	v_mul_f64 v[27:28], v[55:56], s[18:19]
	scratch_store_b128 off, v[6:9], off offset:20 ; 16-byte Folded Spill
	v_fma_f64 v[6:7], v[126:127], s[48:49], v[240:241]
	v_add_f64 v[238:239], v[17:18], v[236:237]
	v_mul_f64 v[236:237], v[254:255], s[42:43]
	v_fma_f64 v[8:9], v[130:131], s[58:59], v[242:243]
	s_delay_alu instid0(VALU_DEP_4) | instskip(NEXT) | instid1(VALU_DEP_3)
	v_add_f64 v[6:7], v[19:20], v[6:7]
	v_fma_f64 v[72:73], v[138:139], s[12:13], v[236:237]
	s_delay_alu instid0(VALU_DEP_2) | instskip(NEXT) | instid1(VALU_DEP_2)
	v_add_f64 v[8:9], v[8:9], v[6:7]
	v_add_f64 v[72:73], v[72:73], v[238:239]
	v_fma_f64 v[238:239], v[142:143], s[34:35], v[214:215]
	s_delay_alu instid0(VALU_DEP_1) | instskip(SKIP_1) | instid1(VALU_DEP_2)
	v_add_f64 v[8:9], v[238:239], v[8:9]
	v_mul_f64 v[238:239], v[49:50], s[56:57]
	v_add_f64 v[8:9], v[78:79], v[8:9]
	s_delay_alu instid0(VALU_DEP_2) | instskip(NEXT) | instid1(VALU_DEP_2)
	v_fma_f64 v[76:77], v[148:149], s[0:1], v[238:239]
	v_add_f64 v[8:9], v[82:83], v[8:9]
	s_delay_alu instid0(VALU_DEP_2)
	v_add_f64 v[72:73], v[76:77], v[72:73]
	v_mul_f64 v[77:78], v[55:56], s[0:1]
	v_mul_f64 v[75:76], v[69:70], s[16:17]
	;; [unrolled: 1-line block ×3, first 2 shown]
	v_add_f64 v[8:9], v[86:87], v[8:9]
	v_add_f64 v[72:73], v[80:81], v[72:73]
	v_mul_f64 v[81:82], v[2:3], s[42:43]
	v_mul_f64 v[79:80], v[234:235], s[12:13]
	s_delay_alu instid0(VALU_DEP_4) | instskip(NEXT) | instid1(VALU_DEP_4)
	v_add_f64 v[8:9], v[90:91], v[8:9]
	v_add_f64 v[72:73], v[84:85], v[72:73]
	v_mul_f64 v[85:86], v[51:52], s[28:29]
	v_mul_f64 v[83:84], v[4:5], s[26:27]
	s_delay_alu instid0(VALU_DEP_4) | instskip(NEXT) | instid1(VALU_DEP_4)
	v_add_f64 v[8:9], v[96:97], v[8:9]
	v_add_f64 v[72:73], v[88:89], v[72:73]
	v_mul_f64 v[89:90], v[244:245], s[24:25]
	v_mul_f64 v[87:88], v[10:11], s[60:61]
	;; [unrolled: 1-line block ×4, first 2 shown]
	v_add_f64 v[72:73], v[92:93], v[72:73]
	v_mul_f64 v[91:92], v[63:64], s[34:35]
	s_delay_alu instid0(VALU_DEP_2) | instskip(SKIP_1) | instid1(VALU_DEP_3)
	v_add_f64 v[72:73], v[94:95], v[72:73]
	v_mul_f64 v[93:94], v[53:54], s[40:41]
	v_fma_f64 v[160:161], v[164:165], s[0:1], v[91:92]
	v_mul_f64 v[53:54], v[53:54], s[54:55]
	s_delay_alu instid0(VALU_DEP_4)
	v_fma_f64 v[6:7], v[72:73], v[21:22], -v[0:1]
	v_fma_f64 v[0:1], v[126:127], s[60:61], v[144:145]
	v_mul_f64 v[96:97], v[72:73], v[12:13]
	v_fma_f64 v[12:13], v[130:131], s[56:57], v[136:137]
	v_mul_f64 v[73:74], v[186:187], s[18:19]
	v_mul_f64 v[71:72], v[248:249], s[12:13]
	v_add_f64 v[0:1], v[19:20], v[0:1]
	v_fma_f64 v[8:9], v[8:9], v[21:22], v[96:97]
	v_fma_f64 v[21:22], v[138:139], s[0:1], v[152:153]
	v_mul_f64 v[95:96], v[250:251], s[10:11]
	s_delay_alu instid0(VALU_DEP_4) | instskip(SKIP_3) | instid1(VALU_DEP_1)
	v_add_f64 v[0:1], v[12:13], v[0:1]
	v_fma_f64 v[12:13], v[134:135], s[16:17], v[156:157]
	scratch_store_b128 off, v[6:9], off offset:36 ; 16-byte Folded Spill
	v_add_f64 v[12:13], v[17:18], v[12:13]
	v_add_f64 v[12:13], v[21:22], v[12:13]
	v_fma_f64 v[21:22], v[142:143], s[44:45], v[128:129]
	s_delay_alu instid0(VALU_DEP_1) | instskip(SKIP_1) | instid1(VALU_DEP_1)
	v_add_f64 v[0:1], v[21:22], v[0:1]
	v_fma_f64 v[21:22], v[148:149], s[14:15], v[150:151]
	v_add_f64 v[12:13], v[21:22], v[12:13]
	v_fma_f64 v[21:22], v[146:147], s[26:27], v[122:123]
	s_delay_alu instid0(VALU_DEP_1) | instskip(SKIP_1) | instid1(VALU_DEP_1)
	v_add_f64 v[0:1], v[21:22], v[0:1]
	v_fma_f64 v[21:22], v[154:155], s[18:19], v[140:141]
	;; [unrolled: 5-line block ×3, first 2 shown]
	v_add_f64 v[12:13], v[21:22], v[12:13]
	v_fma_f64 v[21:22], v[170:171], s[52:53], v[110:111]
	s_delay_alu instid0(VALU_DEP_2) | instskip(NEXT) | instid1(VALU_DEP_2)
	v_add_f64 v[12:13], v[65:66], v[12:13]
	v_add_f64 v[0:1], v[21:22], v[0:1]
	v_fma_f64 v[65:66], v[178:179], s[42:43], v[108:109]
	v_mul_f64 v[21:22], v[10:11], s[34:35]
	s_delay_alu instid0(VALU_DEP_4) | instskip(SKIP_1) | instid1(VALU_DEP_4)
	v_add_f64 v[12:13], v[112:113], v[12:13]
	v_fma_f64 v[112:113], v[184:185], s[24:25], v[118:119]
	v_add_f64 v[0:1], v[65:66], v[0:1]
	v_mul_f64 v[65:66], v[252:253], s[42:43]
	s_delay_alu instid0(VALU_DEP_3) | instskip(SKIP_1) | instid1(VALU_DEP_1)
	v_add_f64 v[12:13], v[112:113], v[12:13]
	v_fma_f64 v[112:113], v[190:191], s[30:31], v[116:117]
	v_add_f64 v[0:1], v[112:113], v[0:1]
	s_delay_alu instid0(VALU_DEP_3) | instskip(NEXT) | instid1(VALU_DEP_2)
	v_mul_f64 v[112:113], v[12:13], v[15:16]
	v_mul_f64 v[14:15], v[0:1], v[15:16]
	s_delay_alu instid0(VALU_DEP_2) | instskip(SKIP_1) | instid1(VALU_DEP_3)
	v_fma_f64 v[8:9], v[0:1], v[25:26], v[112:113]
	v_mul_f64 v[112:113], v[248:249], s[14:15]
	v_fma_f64 v[6:7], v[12:13], v[25:26], -v[14:15]
	v_fma_f64 v[12:13], v[130:131], s[36:37], v[95:96]
	s_delay_alu instid0(VALU_DEP_3) | instskip(SKIP_4) | instid1(VALU_DEP_1)
	v_fma_f64 v[0:1], v[126:127], s[50:51], v[112:113]
	v_fma_f64 v[25:26], v[138:139], s[10:11], v[104:105]
	v_mul_f64 v[14:15], v[186:187], s[24:25]
	scratch_store_b128 off, v[6:9], off offset:52 ; 16-byte Folded Spill
	v_add_f64 v[0:1], v[19:20], v[0:1]
	v_add_f64 v[0:1], v[12:13], v[0:1]
	v_fma_f64 v[12:13], v[134:135], s[14:15], v[106:107]
	s_delay_alu instid0(VALU_DEP_1) | instskip(NEXT) | instid1(VALU_DEP_1)
	v_add_f64 v[12:13], v[17:18], v[12:13]
	v_add_f64 v[12:13], v[25:26], v[12:13]
	v_fma_f64 v[25:26], v[142:143], s[30:31], v[89:90]
	s_delay_alu instid0(VALU_DEP_1) | instskip(SKIP_1) | instid1(VALU_DEP_1)
	v_add_f64 v[0:1], v[25:26], v[0:1]
	v_fma_f64 v[25:26], v[148:149], s[24:25], v[102:103]
	v_add_f64 v[12:13], v[25:26], v[12:13]
	v_fma_f64 v[25:26], v[146:147], s[48:49], v[85:86]
	s_delay_alu instid0(VALU_DEP_1) | instskip(SKIP_1) | instid1(VALU_DEP_1)
	v_add_f64 v[0:1], v[25:26], v[0:1]
	v_fma_f64 v[25:26], v[154:155], s[28:29], v[93:94]
	v_add_f64 v[12:13], v[25:26], v[12:13]
	v_fma_f64 v[25:26], v[158:159], s[56:57], v[77:78]
	s_delay_alu instid0(VALU_DEP_2) | instskip(NEXT) | instid1(VALU_DEP_2)
	v_add_f64 v[12:13], v[160:161], v[12:13]
	v_add_f64 v[0:1], v[25:26], v[0:1]
	v_fma_f64 v[160:161], v[170:171], s[46:47], v[75:76]
	v_mul_f64 v[25:26], v[63:64], s[26:27]
	v_mul_f64 v[63:64], v[63:64], s[42:43]
	s_delay_alu instid0(VALU_DEP_3) | instskip(SKIP_1) | instid1(VALU_DEP_1)
	v_add_f64 v[0:1], v[160:161], v[0:1]
	v_fma_f64 v[160:161], v[174:175], s[16:17], v[87:88]
	v_add_f64 v[12:13], v[160:161], v[12:13]
	v_fma_f64 v[160:161], v[178:179], s[38:39], v[73:74]
	s_delay_alu instid0(VALU_DEP_1) | instskip(SKIP_1) | instid1(VALU_DEP_1)
	v_add_f64 v[0:1], v[160:161], v[0:1]
	v_fma_f64 v[160:161], v[182:183], s[18:19], v[83:84]
	v_add_f64 v[12:13], v[160:161], v[12:13]
	v_fma_f64 v[160:161], v[184:185], s[12:13], v[81:82]
	s_delay_alu instid0(VALU_DEP_1) | instskip(SKIP_1) | instid1(VALU_DEP_1)
	v_add_f64 v[12:13], v[160:161], v[12:13]
	v_fma_f64 v[160:161], v[190:191], s[58:59], v[79:80]
	v_add_f64 v[0:1], v[160:161], v[0:1]
	s_delay_alu instid0(VALU_DEP_3) | instskip(NEXT) | instid1(VALU_DEP_2)
	v_mul_f64 v[160:161], v[12:13], v[162:163]
	v_mul_f64 v[162:163], v[0:1], v[162:163]
	s_delay_alu instid0(VALU_DEP_2) | instskip(SKIP_2) | instid1(VALU_DEP_4)
	v_fma_f64 v[8:9], v[0:1], v[61:62], v[160:161]
	v_fma_f64 v[0:1], v[126:127], s[58:59], v[71:72]
	;; [unrolled: 1-line block ×3, first 2 shown]
	v_fma_f64 v[6:7], v[12:13], v[61:62], -v[162:163]
	v_mul_f64 v[61:62], v[254:255], s[50:51]
	s_delay_alu instid0(VALU_DEP_4)
	v_add_f64 v[0:1], v[19:20], v[0:1]
	v_mul_f64 v[12:13], v[4:5], s[54:55]
	scratch_store_b128 off, v[6:9], off offset:68 ; 16-byte Folded Spill
	v_fma_f64 v[162:163], v[138:139], s[14:15], v[61:62]
	v_add_f64 v[0:1], v[160:161], v[0:1]
	v_fma_f64 v[160:161], v[134:135], s[12:13], v[65:66]
	s_delay_alu instid0(VALU_DEP_1) | instskip(NEXT) | instid1(VALU_DEP_1)
	v_add_f64 v[160:161], v[17:18], v[160:161]
	v_add_f64 v[160:161], v[162:163], v[160:161]
	v_fma_f64 v[162:163], v[142:143], s[38:39], v[59:60]
	s_delay_alu instid0(VALU_DEP_1) | instskip(SKIP_1) | instid1(VALU_DEP_1)
	v_add_f64 v[0:1], v[162:163], v[0:1]
	v_fma_f64 v[162:163], v[148:149], s[18:19], v[57:58]
	v_add_f64 v[160:161], v[162:163], v[160:161]
	v_fma_f64 v[162:163], v[146:147], s[52:53], v[47:48]
	s_delay_alu instid0(VALU_DEP_1) | instskip(SKIP_1) | instid1(VALU_DEP_1)
	v_add_f64 v[0:1], v[162:163], v[0:1]
	v_fma_f64 v[162:163], v[154:155], s[10:11], v[45:46]
	;; [unrolled: 5-line block ×3, first 2 shown]
	v_add_f64 v[160:161], v[162:163], v[160:161]
	v_mul_f64 v[162:163], v[69:70], s[24:25]
	v_mul_f64 v[69:70], v[69:70], s[28:29]
	s_delay_alu instid0(VALU_DEP_2) | instskip(NEXT) | instid1(VALU_DEP_1)
	v_fma_f64 v[172:173], v[170:171], s[54:55], v[162:163]
	v_add_f64 v[0:1], v[172:173], v[0:1]
	v_mul_f64 v[172:173], v[10:11], s[30:31]
	v_mul_f64 v[10:11], v[10:11], s[48:49]
	s_delay_alu instid0(VALU_DEP_2) | instskip(NEXT) | instid1(VALU_DEP_1)
	v_fma_f64 v[196:197], v[174:175], s[24:25], v[172:173]
	v_add_f64 v[160:161], v[196:197], v[160:161]
	v_mul_f64 v[196:197], v[186:187], s[0:1]
	s_delay_alu instid0(VALU_DEP_1) | instskip(NEXT) | instid1(VALU_DEP_1)
	v_fma_f64 v[198:199], v[178:179], s[56:57], v[196:197]
	v_add_f64 v[0:1], v[198:199], v[0:1]
	v_mul_f64 v[198:199], v[4:5], s[34:35]
	v_mul_f64 v[4:5], v[4:5], s[44:45]
	s_delay_alu instid0(VALU_DEP_2) | instskip(NEXT) | instid1(VALU_DEP_1)
	v_fma_f64 v[194:195], v[182:183], s[0:1], v[198:199]
	v_add_f64 v[160:161], v[194:195], v[160:161]
	v_mul_f64 v[194:195], v[2:3], s[48:49]
	s_delay_alu instid0(VALU_DEP_1) | instskip(NEXT) | instid1(VALU_DEP_1)
	v_fma_f64 v[202:203], v[184:185], s[28:29], v[194:195]
	v_add_f64 v[160:161], v[202:203], v[160:161]
	v_mul_f64 v[202:203], v[234:235], s[28:29]
	s_delay_alu instid0(VALU_DEP_1) | instskip(NEXT) | instid1(VALU_DEP_1)
	v_fma_f64 v[204:205], v[190:191], s[40:41], v[202:203]
	v_add_f64 v[0:1], v[204:205], v[0:1]
	s_delay_alu instid0(VALU_DEP_4) | instskip(NEXT) | instid1(VALU_DEP_2)
	v_mul_f64 v[204:205], v[160:161], v[98:99]
	v_mul_f64 v[98:99], v[0:1], v[98:99]
	s_delay_alu instid0(VALU_DEP_2) | instskip(SKIP_1) | instid1(VALU_DEP_3)
	v_fma_f64 v[8:9], v[0:1], v[100:101], v[204:205]
	v_mul_f64 v[204:205], v[250:251], s[28:29]
	v_fma_f64 v[6:7], v[160:161], v[100:101], -v[98:99]
	v_mul_f64 v[160:161], v[248:249], s[10:11]
	s_delay_alu instid0(VALU_DEP_3)
	v_fma_f64 v[98:99], v[130:131], s[40:41], v[204:205]
	v_fma_f64 v[100:101], v[138:139], s[28:29], v[37:38]
	v_fma_f64 v[37:38], v[138:139], s[28:29], -v[37:38]
	scratch_store_b128 off, v[6:9], off offset:84 ; 16-byte Folded Spill
	v_fma_f64 v[0:1], v[126:127], s[52:53], v[160:161]
	v_mul_f64 v[8:9], v[2:3], s[44:45]
	v_mul_f64 v[6:7], v[234:235], s[14:15]
	;; [unrolled: 1-line block ×3, first 2 shown]
	s_delay_alu instid0(VALU_DEP_4) | instskip(NEXT) | instid1(VALU_DEP_1)
	v_add_f64 v[0:1], v[19:20], v[0:1]
	v_add_f64 v[0:1], v[98:99], v[0:1]
	v_fma_f64 v[98:99], v[134:135], s[10:11], v[39:40]
	v_fma_f64 v[39:40], v[134:135], s[10:11], -v[39:40]
	s_delay_alu instid0(VALU_DEP_2) | instskip(NEXT) | instid1(VALU_DEP_2)
	v_add_f64 v[98:99], v[17:18], v[98:99]
	v_add_f64 v[39:40], v[17:18], v[39:40]
	s_delay_alu instid0(VALU_DEP_2) | instskip(SKIP_2) | instid1(VALU_DEP_4)
	v_add_f64 v[97:98], v[100:101], v[98:99]
	v_fma_f64 v[99:100], v[142:143], s[60:61], v[35:36]
	v_fma_f64 v[35:36], v[142:143], s[46:47], v[35:36]
	v_add_f64 v[37:38], v[37:38], v[39:40]
	s_delay_alu instid0(VALU_DEP_3) | instskip(SKIP_2) | instid1(VALU_DEP_2)
	v_add_f64 v[0:1], v[99:100], v[0:1]
	v_fma_f64 v[99:100], v[148:149], s[16:17], v[33:34]
	v_fma_f64 v[33:34], v[148:149], s[16:17], -v[33:34]
	v_add_f64 v[97:98], v[99:100], v[97:98]
	v_fma_f64 v[99:100], v[146:147], s[42:43], v[31:32]
	v_fma_f64 v[31:32], v[146:147], s[58:59], v[31:32]
	s_delay_alu instid0(VALU_DEP_4) | instskip(NEXT) | instid1(VALU_DEP_3)
	v_add_f64 v[33:34], v[33:34], v[37:38]
	v_add_f64 v[0:1], v[99:100], v[0:1]
	v_fma_f64 v[99:100], v[154:155], s[12:13], v[29:30]
	v_fma_f64 v[29:30], v[154:155], s[12:13], -v[29:30]
	s_delay_alu instid0(VALU_DEP_2) | instskip(SKIP_2) | instid1(VALU_DEP_4)
	v_add_f64 v[97:98], v[99:100], v[97:98]
	v_fma_f64 v[99:100], v[158:159], s[38:39], v[27:28]
	v_fma_f64 v[27:28], v[158:159], s[26:27], v[27:28]
	v_add_f64 v[29:30], v[29:30], v[33:34]
	s_delay_alu instid0(VALU_DEP_3) | instskip(SKIP_2) | instid1(VALU_DEP_2)
	v_add_f64 v[0:1], v[99:100], v[0:1]
	v_fma_f64 v[99:100], v[164:165], s[18:19], v[25:26]
	v_fma_f64 v[25:26], v[164:165], s[18:19], -v[25:26]
	v_add_f64 v[97:98], v[99:100], v[97:98]
	v_fma_f64 v[99:100], v[170:171], s[56:57], v[23:24]
	v_fma_f64 v[23:24], v[170:171], s[34:35], v[23:24]
	s_delay_alu instid0(VALU_DEP_4) | instskip(NEXT) | instid1(VALU_DEP_3)
	v_add_f64 v[25:26], v[25:26], v[29:30]
	v_add_f64 v[0:1], v[99:100], v[0:1]
	v_fma_f64 v[99:100], v[174:175], s[0:1], v[21:22]
	v_fma_f64 v[21:22], v[174:175], s[0:1], -v[21:22]
	s_delay_alu instid0(VALU_DEP_2) | instskip(SKIP_2) | instid1(VALU_DEP_4)
	v_add_f64 v[97:98], v[99:100], v[97:98]
	v_fma_f64 v[99:100], v[178:179], s[30:31], v[14:15]
	v_fma_f64 v[14:15], v[178:179], s[54:55], v[14:15]
	v_add_f64 v[21:22], v[21:22], v[25:26]
	s_delay_alu instid0(VALU_DEP_3) | instskip(SKIP_2) | instid1(VALU_DEP_2)
	v_add_f64 v[0:1], v[99:100], v[0:1]
	v_fma_f64 v[99:100], v[182:183], s[24:25], v[12:13]
	v_fma_f64 v[12:13], v[182:183], s[24:25], -v[12:13]
	v_add_f64 v[97:98], v[99:100], v[97:98]
	v_fma_f64 v[99:100], v[184:185], s[14:15], v[8:9]
	s_delay_alu instid0(VALU_DEP_3) | instskip(SKIP_1) | instid1(VALU_DEP_3)
	v_add_f64 v[12:13], v[12:13], v[21:22]
	v_fma_f64 v[8:9], v[184:185], s[14:15], -v[8:9]
	v_add_f64 v[97:98], v[99:100], v[97:98]
	v_fma_f64 v[99:100], v[190:191], s[50:51], v[6:7]
	s_delay_alu instid0(VALU_DEP_3) | instskip(NEXT) | instid1(VALU_DEP_2)
	v_add_f64 v[8:9], v[8:9], v[12:13]
	v_add_f64 v[0:1], v[99:100], v[0:1]
	s_delay_alu instid0(VALU_DEP_4) | instskip(NEXT) | instid1(VALU_DEP_2)
	v_mul_f64 v[99:100], v[97:98], v[166:167]
	v_mul_f64 v[166:167], v[0:1], v[166:167]
	s_delay_alu instid0(VALU_DEP_2) | instskip(SKIP_1) | instid1(VALU_DEP_3)
	v_fma_f64 v[100:101], v[0:1], v[168:169], v[99:100]
	v_mul_f64 v[0:1], v[248:249], s[0:1]
	v_fma_f64 v[98:99], v[97:98], v[168:169], -v[166:167]
	v_mul_f64 v[166:167], v[250:251], s[18:19]
	s_delay_alu instid0(VALU_DEP_3) | instskip(SKIP_2) | instid1(VALU_DEP_4)
	v_fma_f64 v[168:169], v[126:127], s[56:57], v[0:1]
	v_mul_f64 v[250:251], v[254:255], s[38:39]
	v_fma_f64 v[0:1], v[126:127], s[34:35], v[0:1]
	v_fma_f64 v[248:249], v[130:131], s[26:27], v[166:167]
	s_delay_alu instid0(VALU_DEP_4) | instskip(NEXT) | instid1(VALU_DEP_4)
	v_add_f64 v[168:169], v[19:20], v[168:169]
	v_fma_f64 v[254:255], v[138:139], s[18:19], v[250:251]
	v_fma_f64 v[166:167], v[130:131], s[38:39], v[166:167]
	v_add_f64 v[0:1], v[19:20], v[0:1]
	s_delay_alu instid0(VALU_DEP_4) | instskip(SKIP_1) | instid1(VALU_DEP_3)
	v_add_f64 v[168:169], v[248:249], v[168:169]
	v_mul_f64 v[248:249], v[252:253], s[34:35]
	v_add_f64 v[0:1], v[166:167], v[0:1]
	s_delay_alu instid0(VALU_DEP_2) | instskip(SKIP_1) | instid1(VALU_DEP_2)
	v_fma_f64 v[252:253], v[134:135], s[0:1], v[248:249]
	v_fma_f64 v[166:167], v[134:135], s[0:1], -v[248:249]
	v_add_f64 v[252:253], v[17:18], v[252:253]
	s_delay_alu instid0(VALU_DEP_2) | instskip(NEXT) | instid1(VALU_DEP_2)
	v_add_f64 v[166:167], v[17:18], v[166:167]
	v_add_f64 v[252:253], v[254:255], v[252:253]
	v_fma_f64 v[254:255], v[142:143], s[52:53], v[244:245]
	s_delay_alu instid0(VALU_DEP_1) | instskip(SKIP_1) | instid1(VALU_DEP_1)
	v_add_f64 v[168:169], v[254:255], v[168:169]
	v_mul_f64 v[254:255], v[49:50], s[36:37]
	v_fma_f64 v[49:50], v[148:149], s[10:11], v[254:255]
	s_delay_alu instid0(VALU_DEP_1) | instskip(SKIP_1) | instid1(VALU_DEP_1)
	v_add_f64 v[49:50], v[49:50], v[252:253]
	v_mul_f64 v[252:253], v[51:52], s[24:25]
	v_fma_f64 v[51:52], v[146:147], s[30:31], v[252:253]
	s_delay_alu instid0(VALU_DEP_1) | instskip(SKIP_2) | instid1(VALU_DEP_2)
	v_add_f64 v[51:52], v[51:52], v[168:169]
	v_fma_f64 v[168:169], v[154:155], s[24:25], v[53:54]
	v_fma_f64 v[53:54], v[154:155], s[24:25], -v[53:54]
	v_add_f64 v[49:50], v[168:169], v[49:50]
	v_fma_f64 v[168:169], v[158:159], s[58:59], v[55:56]
	v_fma_f64 v[55:56], v[158:159], s[42:43], v[55:56]
	s_delay_alu instid0(VALU_DEP_2) | instskip(SKIP_1) | instid1(VALU_DEP_1)
	v_add_f64 v[51:52], v[168:169], v[51:52]
	v_fma_f64 v[168:169], v[164:165], s[12:13], v[63:64]
	v_add_f64 v[49:50], v[168:169], v[49:50]
	v_fma_f64 v[168:169], v[170:171], s[40:41], v[69:70]
	s_delay_alu instid0(VALU_DEP_1) | instskip(SKIP_2) | instid1(VALU_DEP_2)
	v_add_f64 v[51:52], v[168:169], v[51:52]
	v_fma_f64 v[168:169], v[174:175], s[28:29], v[10:11]
	v_fma_f64 v[10:11], v[174:175], s[28:29], -v[10:11]
	v_add_f64 v[49:50], v[168:169], v[49:50]
	v_mul_f64 v[168:169], v[186:187], s[14:15]
	s_delay_alu instid0(VALU_DEP_1) | instskip(NEXT) | instid1(VALU_DEP_1)
	v_fma_f64 v[186:187], v[178:179], s[50:51], v[168:169]
	v_add_f64 v[51:52], v[186:187], v[51:52]
	v_fma_f64 v[186:187], v[182:183], s[14:15], v[4:5]
	v_fma_f64 v[4:5], v[182:183], s[14:15], -v[4:5]
	s_delay_alu instid0(VALU_DEP_2) | instskip(SKIP_2) | instid1(VALU_DEP_2)
	v_add_f64 v[49:50], v[186:187], v[49:50]
	v_fma_f64 v[186:187], v[184:185], s[16:17], v[2:3]
	v_fma_f64 v[2:3], v[184:185], s[16:17], -v[2:3]
	v_add_f64 v[49:50], v[186:187], v[49:50]
	v_mul_f64 v[186:187], v[234:235], s[16:17]
	s_delay_alu instid0(VALU_DEP_1) | instskip(NEXT) | instid1(VALU_DEP_1)
	v_fma_f64 v[234:235], v[190:191], s[46:47], v[186:187]
	v_add_f64 v[51:52], v[234:235], v[51:52]
	s_delay_alu instid0(VALU_DEP_4) | instskip(NEXT) | instid1(VALU_DEP_2)
	v_mul_f64 v[234:235], v[49:50], v[200:201]
	v_mul_f64 v[200:201], v[51:52], v[200:201]
	s_delay_alu instid0(VALU_DEP_2) | instskip(NEXT) | instid1(VALU_DEP_2)
	v_fma_f64 v[51:52], v[51:52], v[246:247], v[234:235]
	v_fma_f64 v[49:50], v[49:50], v[246:247], -v[200:201]
	v_fma_f64 v[200:201], v[138:139], s[18:19], -v[250:251]
	s_delay_alu instid0(VALU_DEP_1) | instskip(SKIP_1) | instid1(VALU_DEP_1)
	v_add_f64 v[166:167], v[200:201], v[166:167]
	v_fma_f64 v[200:201], v[142:143], s[36:37], v[244:245]
	v_add_f64 v[0:1], v[200:201], v[0:1]
	v_fma_f64 v[200:201], v[148:149], s[10:11], -v[254:255]
	s_delay_alu instid0(VALU_DEP_1) | instskip(SKIP_1) | instid1(VALU_DEP_2)
	v_add_f64 v[166:167], v[200:201], v[166:167]
	v_fma_f64 v[200:201], v[146:147], s[54:55], v[252:253]
	v_add_f64 v[53:54], v[53:54], v[166:167]
	s_delay_alu instid0(VALU_DEP_2) | instskip(NEXT) | instid1(VALU_DEP_1)
	v_add_f64 v[0:1], v[200:201], v[0:1]
	v_add_f64 v[0:1], v[55:56], v[0:1]
	v_fma_f64 v[55:56], v[164:165], s[12:13], -v[63:64]
	s_delay_alu instid0(VALU_DEP_1) | instskip(SKIP_1) | instid1(VALU_DEP_2)
	v_add_f64 v[53:54], v[55:56], v[53:54]
	v_fma_f64 v[55:56], v[170:171], s[48:49], v[69:70]
	v_add_f64 v[10:11], v[10:11], v[53:54]
	s_delay_alu instid0(VALU_DEP_2) | instskip(SKIP_1) | instid1(VALU_DEP_3)
	v_add_f64 v[0:1], v[55:56], v[0:1]
	v_fma_f64 v[53:54], v[178:179], s[44:45], v[168:169]
	v_add_f64 v[4:5], v[4:5], v[10:11]
	s_delay_alu instid0(VALU_DEP_2) | instskip(NEXT) | instid1(VALU_DEP_2)
	v_add_f64 v[0:1], v[53:54], v[0:1]
	v_add_f64 v[10:11], v[2:3], v[4:5]
	v_fma_f64 v[2:3], v[190:191], s[60:61], v[186:187]
	v_fma_f64 v[5:6], v[190:191], s[44:45], v[6:7]
	s_delay_alu instid0(VALU_DEP_2) | instskip(NEXT) | instid1(VALU_DEP_4)
	v_add_f64 v[0:1], v[2:3], v[0:1]
	v_mul_f64 v[2:3], v[10:11], v[222:223]
	s_delay_alu instid0(VALU_DEP_2) | instskip(NEXT) | instid1(VALU_DEP_2)
	v_mul_f64 v[53:54], v[0:1], v[222:223]
	v_fma_f64 v[3:4], v[0:1], v[230:231], v[2:3]
	s_delay_alu instid0(VALU_DEP_2) | instskip(SKIP_2) | instid1(VALU_DEP_2)
	v_fma_f64 v[1:2], v[10:11], v[230:231], -v[53:54]
	v_fma_f64 v[10:11], v[126:127], s[36:37], v[160:161]
	v_fma_f64 v[53:54], v[130:131], s[48:49], v[204:205]
	v_add_f64 v[10:11], v[19:20], v[10:11]
	s_delay_alu instid0(VALU_DEP_1) | instskip(NEXT) | instid1(VALU_DEP_1)
	v_add_f64 v[10:11], v[53:54], v[10:11]
	v_add_f64 v[10:11], v[35:36], v[10:11]
	s_delay_alu instid0(VALU_DEP_1) | instskip(NEXT) | instid1(VALU_DEP_1)
	v_add_f64 v[10:11], v[31:32], v[10:11]
	;; [unrolled: 3-line block ×3, first 2 shown]
	v_add_f64 v[10:11], v[14:15], v[10:11]
	scratch_load_b64 v[14:15], off, off offset:716 ; 8-byte Folded Reload
	v_add_f64 v[5:6], v[5:6], v[10:11]
	v_mul_f64 v[10:11], v[8:9], v[232:233]
	s_delay_alu instid0(VALU_DEP_2) | instskip(SKIP_1) | instid1(VALU_DEP_2)
	v_mul_f64 v[12:13], v[5:6], v[232:233]
	s_waitcnt vmcnt(0)
	v_fma_f64 v[55:56], v[5:6], v[14:15], v[10:11]
	v_fma_f64 v[5:6], v[126:127], s[42:43], v[71:72]
	s_delay_alu instid0(VALU_DEP_3)
	v_fma_f64 v[53:54], v[8:9], v[14:15], -v[12:13]
	v_fma_f64 v[7:8], v[130:131], s[50:51], v[67:68]
	v_fma_f64 v[9:10], v[138:139], s[14:15], -v[61:62]
	s_clause 0x2
	scratch_load_b64 v[11:12], off, off offset:668
	scratch_load_b64 v[13:14], off, off offset:652
	;; [unrolled: 1-line block ×3, first 2 shown]
	v_add_f64 v[5:6], v[19:20], v[5:6]
	s_delay_alu instid0(VALU_DEP_1) | instskip(SKIP_1) | instid1(VALU_DEP_1)
	v_add_f64 v[5:6], v[7:8], v[5:6]
	v_fma_f64 v[7:8], v[134:135], s[12:13], -v[65:66]
	v_add_f64 v[7:8], v[17:18], v[7:8]
	s_delay_alu instid0(VALU_DEP_1) | instskip(SKIP_1) | instid1(VALU_DEP_1)
	v_add_f64 v[7:8], v[9:10], v[7:8]
	v_fma_f64 v[9:10], v[142:143], s[26:27], v[59:60]
	v_add_f64 v[5:6], v[9:10], v[5:6]
	v_fma_f64 v[9:10], v[148:149], s[18:19], -v[57:58]
	s_delay_alu instid0(VALU_DEP_1) | instskip(SKIP_1) | instid1(VALU_DEP_1)
	v_add_f64 v[7:8], v[9:10], v[7:8]
	v_fma_f64 v[9:10], v[146:147], s[36:37], v[47:48]
	v_add_f64 v[5:6], v[9:10], v[5:6]
	v_fma_f64 v[9:10], v[154:155], s[10:11], -v[45:46]
	s_delay_alu instid0(VALU_DEP_1) | instskip(SKIP_3) | instid1(VALU_DEP_2)
	v_add_f64 v[7:8], v[9:10], v[7:8]
	v_fma_f64 v[9:10], v[158:159], s[60:61], v[43:44]
	s_waitcnt vmcnt(0)
	v_fma_f64 v[15:16], v[148:149], s[28:29], -v[15:16]
	v_add_f64 v[5:6], v[9:10], v[5:6]
	v_fma_f64 v[9:10], v[164:165], s[16:17], -v[41:42]
	s_delay_alu instid0(VALU_DEP_1) | instskip(SKIP_1) | instid1(VALU_DEP_1)
	v_add_f64 v[7:8], v[9:10], v[7:8]
	v_fma_f64 v[9:10], v[170:171], s[30:31], v[162:163]
	v_add_f64 v[5:6], v[9:10], v[5:6]
	v_fma_f64 v[9:10], v[178:179], s[34:35], v[196:197]
	s_delay_alu instid0(VALU_DEP_1) | instskip(SKIP_1) | instid1(VALU_DEP_1)
	v_add_f64 v[5:6], v[9:10], v[5:6]
	v_fma_f64 v[9:10], v[174:175], s[24:25], -v[172:173]
	v_add_f64 v[7:8], v[9:10], v[7:8]
	v_fma_f64 v[9:10], v[182:183], s[0:1], -v[198:199]
	s_delay_alu instid0(VALU_DEP_1) | instskip(SKIP_1) | instid1(VALU_DEP_1)
	v_add_f64 v[7:8], v[9:10], v[7:8]
	v_fma_f64 v[9:10], v[184:185], s[28:29], -v[194:195]
	v_add_f64 v[7:8], v[9:10], v[7:8]
	v_fma_f64 v[9:10], v[190:191], s[48:49], v[202:203]
	s_delay_alu instid0(VALU_DEP_1) | instskip(NEXT) | instid1(VALU_DEP_3)
	v_add_f64 v[5:6], v[9:10], v[5:6]
	v_mul_f64 v[9:10], v[7:8], v[11:12]
	s_delay_alu instid0(VALU_DEP_2) | instskip(NEXT) | instid1(VALU_DEP_2)
	v_mul_f64 v[11:12], v[5:6], v[11:12]
	v_fma_f64 v[63:64], v[5:6], v[13:14], v[9:10]
	v_fma_f64 v[5:6], v[126:127], s[44:45], v[112:113]
	v_fma_f64 v[9:10], v[138:139], s[10:11], -v[104:105]
	s_delay_alu instid0(VALU_DEP_4) | instskip(SKIP_1) | instid1(VALU_DEP_4)
	v_fma_f64 v[61:62], v[7:8], v[13:14], -v[11:12]
	v_fma_f64 v[7:8], v[130:131], s[52:53], v[95:96]
	v_add_f64 v[5:6], v[19:20], v[5:6]
	s_clause 0x1
	scratch_load_b64 v[11:12], off, off offset:588
	scratch_load_b64 v[13:14], off, off offset:580
	v_add_f64 v[5:6], v[7:8], v[5:6]
	v_fma_f64 v[7:8], v[142:143], s[54:55], v[89:90]
	s_delay_alu instid0(VALU_DEP_1) | instskip(SKIP_1) | instid1(VALU_DEP_1)
	v_add_f64 v[5:6], v[7:8], v[5:6]
	v_fma_f64 v[7:8], v[146:147], s[40:41], v[85:86]
	v_add_f64 v[5:6], v[7:8], v[5:6]
	v_fma_f64 v[7:8], v[158:159], s[34:35], v[77:78]
	s_delay_alu instid0(VALU_DEP_1) | instskip(SKIP_1) | instid1(VALU_DEP_1)
	v_add_f64 v[5:6], v[7:8], v[5:6]
	v_fma_f64 v[7:8], v[170:171], s[60:61], v[75:76]
	v_add_f64 v[5:6], v[7:8], v[5:6]
	v_fma_f64 v[7:8], v[178:179], s[26:27], v[73:74]
	s_delay_alu instid0(VALU_DEP_1) | instskip(SKIP_1) | instid1(VALU_DEP_1)
	v_add_f64 v[5:6], v[7:8], v[5:6]
	v_fma_f64 v[7:8], v[134:135], s[14:15], -v[106:107]
	v_add_f64 v[7:8], v[17:18], v[7:8]
	s_delay_alu instid0(VALU_DEP_1) | instskip(SKIP_1) | instid1(VALU_DEP_1)
	v_add_f64 v[7:8], v[9:10], v[7:8]
	v_fma_f64 v[9:10], v[148:149], s[24:25], -v[102:103]
	v_add_f64 v[7:8], v[9:10], v[7:8]
	v_fma_f64 v[9:10], v[154:155], s[28:29], -v[93:94]
	s_delay_alu instid0(VALU_DEP_1) | instskip(SKIP_1) | instid1(VALU_DEP_1)
	v_add_f64 v[7:8], v[9:10], v[7:8]
	v_fma_f64 v[9:10], v[164:165], s[0:1], -v[91:92]
	v_add_f64 v[7:8], v[9:10], v[7:8]
	v_fma_f64 v[9:10], v[174:175], s[16:17], -v[87:88]
	s_delay_alu instid0(VALU_DEP_1) | instskip(SKIP_1) | instid1(VALU_DEP_1)
	v_add_f64 v[7:8], v[9:10], v[7:8]
	v_fma_f64 v[9:10], v[182:183], s[18:19], -v[83:84]
	v_add_f64 v[7:8], v[9:10], v[7:8]
	v_fma_f64 v[9:10], v[184:185], s[12:13], -v[81:82]
	s_delay_alu instid0(VALU_DEP_1) | instskip(SKIP_1) | instid1(VALU_DEP_1)
	v_add_f64 v[7:8], v[9:10], v[7:8]
	v_fma_f64 v[9:10], v[190:191], s[42:43], v[79:80]
	v_add_f64 v[5:6], v[9:10], v[5:6]
	s_waitcnt vmcnt(1)
	s_delay_alu instid0(VALU_DEP_3) | instskip(NEXT) | instid1(VALU_DEP_2)
	v_mul_f64 v[9:10], v[7:8], v[11:12]
	v_mul_f64 v[11:12], v[5:6], v[11:12]
	s_waitcnt vmcnt(0)
	s_delay_alu instid0(VALU_DEP_2) | instskip(SKIP_2) | instid1(VALU_DEP_4)
	v_fma_f64 v[200:201], v[5:6], v[13:14], v[9:10]
	v_fma_f64 v[5:6], v[126:127], s[46:47], v[144:145]
	v_fma_f64 v[9:10], v[138:139], s[0:1], -v[152:153]
	v_fma_f64 v[198:199], v[7:8], v[13:14], -v[11:12]
	v_fma_f64 v[7:8], v[130:131], s[34:35], v[136:137]
	s_delay_alu instid0(VALU_DEP_4)
	v_add_f64 v[5:6], v[19:20], v[5:6]
	s_clause 0x1
	scratch_load_b64 v[11:12], off, off offset:572
	scratch_load_b64 v[13:14], off, off offset:564
	v_add_f64 v[5:6], v[7:8], v[5:6]
	v_fma_f64 v[7:8], v[142:143], s[50:51], v[128:129]
	s_delay_alu instid0(VALU_DEP_1) | instskip(SKIP_1) | instid1(VALU_DEP_1)
	v_add_f64 v[5:6], v[7:8], v[5:6]
	v_fma_f64 v[7:8], v[146:147], s[38:39], v[122:123]
	v_add_f64 v[5:6], v[7:8], v[5:6]
	v_fma_f64 v[7:8], v[158:159], s[40:41], v[114:115]
	s_delay_alu instid0(VALU_DEP_1) | instskip(SKIP_1) | instid1(VALU_DEP_1)
	v_add_f64 v[5:6], v[7:8], v[5:6]
	v_fma_f64 v[7:8], v[170:171], s[36:37], v[110:111]
	v_add_f64 v[5:6], v[7:8], v[5:6]
	v_fma_f64 v[7:8], v[178:179], s[58:59], v[108:109]
	s_delay_alu instid0(VALU_DEP_1) | instskip(SKIP_1) | instid1(VALU_DEP_1)
	v_add_f64 v[5:6], v[7:8], v[5:6]
	v_fma_f64 v[7:8], v[134:135], s[16:17], -v[156:157]
	v_add_f64 v[7:8], v[17:18], v[7:8]
	s_delay_alu instid0(VALU_DEP_1) | instskip(SKIP_1) | instid1(VALU_DEP_1)
	v_add_f64 v[7:8], v[9:10], v[7:8]
	v_fma_f64 v[9:10], v[148:149], s[14:15], -v[150:151]
	v_add_f64 v[7:8], v[9:10], v[7:8]
	v_fma_f64 v[9:10], v[154:155], s[18:19], -v[140:141]
	s_delay_alu instid0(VALU_DEP_1) | instskip(SKIP_1) | instid1(VALU_DEP_1)
	v_add_f64 v[7:8], v[9:10], v[7:8]
	v_fma_f64 v[9:10], v[164:165], s[28:29], -v[132:133]
	v_add_f64 v[7:8], v[9:10], v[7:8]
	v_fma_f64 v[9:10], v[174:175], s[10:11], -v[124:125]
	;; [unrolled: 5-line block ×3, first 2 shown]
	s_delay_alu instid0(VALU_DEP_1) | instskip(SKIP_1) | instid1(VALU_DEP_1)
	v_add_f64 v[7:8], v[9:10], v[7:8]
	v_fma_f64 v[9:10], v[190:191], s[54:55], v[116:117]
	v_add_f64 v[5:6], v[9:10], v[5:6]
	s_waitcnt vmcnt(1)
	s_delay_alu instid0(VALU_DEP_3) | instskip(NEXT) | instid1(VALU_DEP_2)
	v_mul_f64 v[9:10], v[7:8], v[11:12]
	v_mul_f64 v[11:12], v[5:6], v[11:12]
	s_waitcnt vmcnt(0)
	s_delay_alu instid0(VALU_DEP_2) | instskip(SKIP_2) | instid1(VALU_DEP_4)
	v_fma_f64 v[196:197], v[5:6], v[13:14], v[9:10]
	v_fma_f64 v[5:6], v[126:127], s[40:41], v[240:241]
	v_fma_f64 v[9:10], v[138:139], s[12:13], -v[236:237]
	v_fma_f64 v[194:195], v[7:8], v[13:14], -v[11:12]
	v_fma_f64 v[7:8], v[130:131], s[42:43], v[242:243]
	s_delay_alu instid0(VALU_DEP_4)
	v_add_f64 v[5:6], v[19:20], v[5:6]
	s_clause 0x1
	scratch_load_b64 v[11:12], off, off offset:500
	scratch_load_b64 v[13:14], off, off offset:492
	v_add_f64 v[5:6], v[7:8], v[5:6]
	v_fma_f64 v[7:8], v[142:143], s[56:57], v[214:215]
	s_delay_alu instid0(VALU_DEP_1) | instskip(SKIP_1) | instid1(VALU_DEP_1)
	v_add_f64 v[5:6], v[7:8], v[5:6]
	v_fma_f64 v[7:8], v[146:147], s[50:51], v[210:211]
	v_add_f64 v[5:6], v[7:8], v[5:6]
	v_fma_f64 v[7:8], v[158:159], s[54:55], v[180:181]
	s_delay_alu instid0(VALU_DEP_1) | instskip(SKIP_1) | instid1(VALU_DEP_1)
	v_add_f64 v[5:6], v[7:8], v[5:6]
	v_fma_f64 v[7:8], v[170:171], s[26:27], v[176:177]
	v_add_f64 v[5:6], v[7:8], v[5:6]
	v_fma_f64 v[7:8], v[134:135], s[28:29], -v[220:221]
	s_delay_alu instid0(VALU_DEP_1) | instskip(NEXT) | instid1(VALU_DEP_1)
	v_add_f64 v[7:8], v[17:18], v[7:8]
	v_add_f64 v[7:8], v[9:10], v[7:8]
	v_fma_f64 v[9:10], v[148:149], s[0:1], -v[238:239]
	s_delay_alu instid0(VALU_DEP_1) | instskip(SKIP_1) | instid1(VALU_DEP_1)
	v_add_f64 v[7:8], v[9:10], v[7:8]
	v_fma_f64 v[9:10], v[154:155], s[14:15], -v[218:219]
	v_add_f64 v[7:8], v[9:10], v[7:8]
	v_fma_f64 v[9:10], v[164:165], s[24:25], -v[216:217]
	s_delay_alu instid0(VALU_DEP_1) | instskip(SKIP_1) | instid1(VALU_DEP_1)
	v_add_f64 v[7:8], v[9:10], v[7:8]
	v_fma_f64 v[9:10], v[174:175], s[18:19], -v[212:213]
	v_add_f64 v[7:8], v[9:10], v[7:8]
	v_fma_f64 v[9:10], v[178:179], s[46:47], v[208:209]
	s_delay_alu instid0(VALU_DEP_1) | instskip(SKIP_1) | instid1(VALU_DEP_1)
	v_add_f64 v[5:6], v[9:10], v[5:6]
	v_fma_f64 v[9:10], v[182:183], s[16:17], -v[206:207]
	v_add_f64 v[7:8], v[9:10], v[7:8]
	v_fma_f64 v[9:10], v[184:185], s[10:11], -v[192:193]
	s_delay_alu instid0(VALU_DEP_1) | instskip(SKIP_1) | instid1(VALU_DEP_1)
	v_add_f64 v[7:8], v[9:10], v[7:8]
	v_fma_f64 v[9:10], v[190:191], s[36:37], v[188:189]
	v_add_f64 v[5:6], v[9:10], v[5:6]
	s_waitcnt vmcnt(1)
	s_delay_alu instid0(VALU_DEP_3) | instskip(NEXT) | instid1(VALU_DEP_2)
	v_mul_f64 v[9:10], v[7:8], v[11:12]
	v_mul_f64 v[11:12], v[5:6], v[11:12]
	s_waitcnt vmcnt(0)
	s_delay_alu instid0(VALU_DEP_2)
	v_fma_f64 v[236:237], v[5:6], v[13:14], v[9:10]
	scratch_load_b64 v[5:6], off, off offset:620 ; 8-byte Folded Reload
	v_fma_f64 v[234:235], v[7:8], v[13:14], -v[11:12]
	s_clause 0x3
	scratch_load_b64 v[7:8], off, off offset:628
	scratch_load_b64 v[9:10], off, off offset:604
	;; [unrolled: 1-line block ×4, first 2 shown]
	s_waitcnt vmcnt(4)
	v_fma_f64 v[5:6], v[126:127], s[30:31], v[5:6]
	s_waitcnt vmcnt(3)
	v_fma_f64 v[7:8], v[130:131], s[46:47], v[7:8]
	s_delay_alu instid0(VALU_DEP_2) | instskip(SKIP_2) | instid1(VALU_DEP_2)
	v_add_f64 v[5:6], v[19:20], v[5:6]
	s_waitcnt vmcnt(2)
	v_fma_f64 v[9:10], v[138:139], s[16:17], -v[9:10]
	v_add_f64 v[5:6], v[7:8], v[5:6]
	scratch_load_b64 v[7:8], off, off offset:660 ; 8-byte Folded Reload
	s_waitcnt vmcnt(0)
	v_fma_f64 v[7:8], v[142:143], s[42:43], v[7:8]
	s_delay_alu instid0(VALU_DEP_1) | instskip(SKIP_3) | instid1(VALU_DEP_1)
	v_add_f64 v[5:6], v[7:8], v[5:6]
	scratch_load_b64 v[7:8], off, off offset:692 ; 8-byte Folded Reload
	s_waitcnt vmcnt(0)
	v_fma_f64 v[7:8], v[146:147], s[34:35], v[7:8]
	v_add_f64 v[5:6], v[7:8], v[5:6]
	scratch_load_b64 v[7:8], off, off offset:700 ; 8-byte Folded Reload
	s_waitcnt vmcnt(0)
	v_fma_f64 v[7:8], v[158:159], s[52:53], v[7:8]
	s_delay_alu instid0(VALU_DEP_1) | instskip(SKIP_3) | instid1(VALU_DEP_1)
	v_add_f64 v[5:6], v[7:8], v[5:6]
	scratch_load_b64 v[7:8], off, off offset:708 ; 8-byte Folded Reload
	s_waitcnt vmcnt(0)
	v_fma_f64 v[7:8], v[170:171], s[50:51], v[7:8]
	v_add_f64 v[5:6], v[7:8], v[5:6]
	scratch_load_b64 v[7:8], off, off offset:596 ; 8-byte Folded Reload
	s_waitcnt vmcnt(0)
	v_fma_f64 v[7:8], v[134:135], s[24:25], -v[7:8]
	s_delay_alu instid0(VALU_DEP_1) | instskip(NEXT) | instid1(VALU_DEP_1)
	v_add_f64 v[7:8], v[17:18], v[7:8]
	v_add_f64 v[7:8], v[9:10], v[7:8]
	scratch_load_b64 v[9:10], off, off offset:612 ; 8-byte Folded Reload
	s_waitcnt vmcnt(0)
	v_fma_f64 v[9:10], v[148:149], s[12:13], -v[9:10]
	s_delay_alu instid0(VALU_DEP_1) | instskip(SKIP_3) | instid1(VALU_DEP_1)
	v_add_f64 v[7:8], v[9:10], v[7:8]
	scratch_load_b64 v[9:10], off, off offset:636 ; 8-byte Folded Reload
	s_waitcnt vmcnt(0)
	v_fma_f64 v[9:10], v[154:155], s[0:1], -v[9:10]
	v_add_f64 v[7:8], v[9:10], v[7:8]
	scratch_load_b64 v[9:10], off, off offset:644 ; 8-byte Folded Reload
	s_waitcnt vmcnt(0)
	v_fma_f64 v[9:10], v[164:165], s[10:11], -v[9:10]
	s_delay_alu instid0(VALU_DEP_1) | instskip(SKIP_3) | instid1(VALU_DEP_1)
	v_add_f64 v[7:8], v[9:10], v[7:8]
	scratch_load_b64 v[9:10], off, off offset:676 ; 8-byte Folded Reload
	s_waitcnt vmcnt(0)
	v_fma_f64 v[9:10], v[174:175], s[14:15], -v[9:10]
	v_add_f64 v[7:8], v[9:10], v[7:8]
	scratch_load_b64 v[9:10], off, off offset:684 ; 8-byte Folded Reload
	s_waitcnt vmcnt(0)
	v_fma_f64 v[9:10], v[178:179], s[48:49], v[9:10]
	s_delay_alu instid0(VALU_DEP_1) | instskip(SKIP_1) | instid1(VALU_DEP_1)
	v_add_f64 v[5:6], v[9:10], v[5:6]
	v_fma_f64 v[9:10], v[182:183], s[28:29], -v[224:225]
	v_add_f64 v[7:8], v[9:10], v[7:8]
	v_fma_f64 v[9:10], v[184:185], s[18:19], -v[226:227]
	s_delay_alu instid0(VALU_DEP_1) | instskip(SKIP_1) | instid1(VALU_DEP_1)
	v_add_f64 v[7:8], v[9:10], v[7:8]
	v_fma_f64 v[9:10], v[190:191], s[38:39], v[228:229]
	v_add_f64 v[5:6], v[9:10], v[5:6]
	s_delay_alu instid0(VALU_DEP_3) | instskip(NEXT) | instid1(VALU_DEP_2)
	v_mul_f64 v[9:10], v[7:8], v[11:12]
	v_mul_f64 v[11:12], v[5:6], v[11:12]
	s_delay_alu instid0(VALU_DEP_2)
	v_fma_f64 v[124:125], v[5:6], v[13:14], v[9:10]
	s_clause 0x1
	scratch_load_b64 v[5:6], off, off offset:388
	scratch_load_b64 v[9:10], off, off offset:348
	v_fma_f64 v[122:123], v[7:8], v[13:14], -v[11:12]
	s_clause 0x2
	scratch_load_b64 v[11:12], off, off offset:404
	scratch_load_b64 v[13:14], off, off offset:420
	scratch_load_b64 v[7:8], off, off offset:340
	s_waitcnt vmcnt(4)
	v_fma_f64 v[5:6], v[134:135], s[18:19], -v[5:6]
	s_waitcnt vmcnt(3)
	v_fma_f64 v[9:10], v[130:131], s[30:31], v[9:10]
	s_waitcnt vmcnt(2)
	v_fma_f64 v[11:12], v[138:139], s[24:25], -v[11:12]
	s_delay_alu instid0(VALU_DEP_3) | instskip(SKIP_2) | instid1(VALU_DEP_2)
	v_add_f64 v[5:6], v[17:18], v[5:6]
	s_waitcnt vmcnt(1)
	v_fma_f64 v[13:14], v[142:143], s[40:41], v[13:14]
	v_add_f64 v[5:6], v[11:12], v[5:6]
	scratch_load_b64 v[11:12], off, off offset:476 ; 8-byte Folded Reload
	v_add_f64 v[5:6], v[15:16], v[5:6]
	scratch_load_b64 v[15:16], off, off offset:508 ; 8-byte Folded Reload
	s_waitcnt vmcnt(1)
	v_fma_f64 v[11:12], v[154:155], s[16:17], -v[11:12]
	s_delay_alu instid0(VALU_DEP_1) | instskip(SKIP_3) | instid1(VALU_DEP_1)
	v_add_f64 v[5:6], v[11:12], v[5:6]
	scratch_load_b64 v[11:12], off, off offset:524 ; 8-byte Folded Reload
	s_waitcnt vmcnt(1)
	v_fma_f64 v[15:16], v[164:165], s[14:15], -v[15:16]
	v_add_f64 v[5:6], v[15:16], v[5:6]
	scratch_load_b64 v[15:16], off, off offset:540 ; 8-byte Folded Reload
	s_waitcnt vmcnt(1)
	v_fma_f64 v[11:12], v[174:175], s[12:13], -v[11:12]
	s_delay_alu instid0(VALU_DEP_1) | instskip(SKIP_3) | instid1(VALU_DEP_1)
	v_add_f64 v[5:6], v[11:12], v[5:6]
	scratch_load_b64 v[11:12], off, off offset:548 ; 8-byte Folded Reload
	s_waitcnt vmcnt(1)
	v_fma_f64 v[15:16], v[182:183], s[10:11], -v[15:16]
	v_add_f64 v[5:6], v[15:16], v[5:6]
	s_waitcnt vmcnt(0)
	v_fma_f64 v[11:12], v[184:185], s[0:1], -v[11:12]
	s_mul_i32 s0, s65, s22
	s_mul_hi_u32 s1, s64, s22
	s_delay_alu instid0(SALU_CYCLE_1) | instskip(SKIP_1) | instid1(SALU_CYCLE_1)
	s_add_i32 s1, s1, s0
	s_mul_i32 s0, s64, s22
	s_lshl_b64 s[0:1], s[0:1], 4
	s_delay_alu instid0(SALU_CYCLE_1) | instskip(SKIP_2) | instid1(SALU_CYCLE_1)
	s_add_u32 s2, s2, s0
	s_addc_u32 s3, s3, s1
	s_lshl_b64 s[0:1], s[20:21], 4
	s_add_u32 s0, s2, s0
	s_addc_u32 s1, s3, s1
	s_delay_alu instid0(VALU_DEP_1) | instskip(SKIP_2) | instid1(VALU_DEP_1)
	v_add_f64 v[5:6], v[11:12], v[5:6]
	scratch_load_b64 v[11:12], off, off offset:188 ; 8-byte Folded Reload
	v_fma_f64 v[7:8], v[126:127], s[26:27], v[7:8]
	v_add_f64 v[7:8], v[19:20], v[7:8]
	s_delay_alu instid0(VALU_DEP_1)
	v_add_f64 v[7:8], v[9:10], v[7:8]
	scratch_load_b64 v[9:10], off, off offset:460 ; 8-byte Folded Reload
	v_add_f64 v[7:8], v[13:14], v[7:8]
	scratch_load_b64 v[13:14], off, off offset:484 ; 8-byte Folded Reload
	s_waitcnt vmcnt(1)
	v_fma_f64 v[9:10], v[146:147], s[46:47], v[9:10]
	s_delay_alu instid0(VALU_DEP_1) | instskip(SKIP_3) | instid1(VALU_DEP_1)
	v_add_f64 v[7:8], v[9:10], v[7:8]
	scratch_load_b64 v[9:10], off, off offset:516 ; 8-byte Folded Reload
	s_waitcnt vmcnt(1)
	v_fma_f64 v[13:14], v[158:159], s[44:45], v[13:14]
	v_add_f64 v[7:8], v[13:14], v[7:8]
	scratch_load_b64 v[13:14], off, off offset:532 ; 8-byte Folded Reload
	s_waitcnt vmcnt(1)
	v_fma_f64 v[9:10], v[170:171], s[42:43], v[9:10]
	s_delay_alu instid0(VALU_DEP_1) | instskip(SKIP_3) | instid1(VALU_DEP_1)
	v_add_f64 v[7:8], v[9:10], v[7:8]
	scratch_load_b64 v[9:10], off, off offset:556 ; 8-byte Folded Reload
	s_waitcnt vmcnt(1)
	v_fma_f64 v[13:14], v[178:179], s[36:37], v[13:14]
	v_add_f64 v[7:8], v[13:14], v[7:8]
	scratch_load_b64 v[13:14], off, off offset:180 ; 8-byte Folded Reload
	s_waitcnt vmcnt(1)
	v_fma_f64 v[9:10], v[190:191], s[34:35], v[9:10]
	s_delay_alu instid0(VALU_DEP_1) | instskip(SKIP_1) | instid1(VALU_DEP_2)
	v_add_f64 v[7:8], v[9:10], v[7:8]
	v_mul_f64 v[9:10], v[5:6], v[11:12]
	v_mul_f64 v[11:12], v[7:8], v[11:12]
	s_waitcnt vmcnt(0)
	s_delay_alu instid0(VALU_DEP_2)
	v_fma_f64 v[120:121], v[7:8], v[13:14], v[9:10]
	s_clause 0x1
	scratch_load_b64 v[9:10], off, off offset:236
	scratch_load_b64 v[7:8], off, off offset:196
	v_fma_f64 v[118:119], v[5:6], v[13:14], -v[11:12]
	s_clause 0x2
	scratch_load_b64 v[5:6], off, off offset:212
	scratch_load_b64 v[11:12], off, off offset:116
	;; [unrolled: 1-line block ×3, first 2 shown]
	s_waitcnt vmcnt(3)
	v_add_f64 v[7:8], v[19:20], v[7:8]
	s_waitcnt vmcnt(2)
	v_add_f64 v[5:6], v[17:18], v[5:6]
	s_delay_alu instid0(VALU_DEP_1)
	v_add_f64 v[5:6], v[5:6], v[9:10]
	scratch_load_b64 v[9:10], off, off offset:220 ; 8-byte Folded Reload
	s_waitcnt vmcnt(0)
	v_add_f64 v[7:8], v[7:8], v[9:10]
	scratch_load_b64 v[9:10], off, off offset:252 ; 8-byte Folded Reload
	s_waitcnt vmcnt(0)
	;; [unrolled: 3-line block ×29, first 2 shown]
	v_add_f64 v[7:8], v[7:8], v[9:10]
	v_mul_f64 v[9:10], v[5:6], v[11:12]
	s_delay_alu instid0(VALU_DEP_2) | instskip(NEXT) | instid1(VALU_DEP_2)
	v_mul_f64 v[11:12], v[7:8], v[11:12]
	v_fma_f64 v[19:20], v[7:8], v[13:14], v[9:10]
	scratch_load_b32 v8, off, off           ; 4-byte Folded Reload
	v_fma_f64 v[17:18], v[5:6], v[13:14], -v[11:12]
	s_waitcnt vmcnt(0)
	v_mad_u64_u32 v[5:6], null, s6, v8, 0
	s_delay_alu instid0(VALU_DEP_1) | instskip(NEXT) | instid1(VALU_DEP_1)
	v_mov_b32_e32 v0, v6
	v_mad_u64_u32 v[6:7], null, s7, v8, v[0:1]
	s_clause 0x1
	scratch_load_b32 v0, off, off offset:124
	scratch_load_b32 v7, off, off offset:100
	v_lshlrev_b64 v[5:6], 4, v[5:6]
	s_delay_alu instid0(VALU_DEP_1) | instskip(NEXT) | instid1(VALU_DEP_2)
	v_add_co_u32 v21, vcc_lo, s0, v5
	v_add_co_ci_u32_e32 v22, vcc_lo, s1, v6, vcc_lo
	s_waitcnt vmcnt(1)
	v_and_b32_e32 v0, 0xffff, v0
	s_delay_alu instid0(VALU_DEP_1) | instskip(NEXT) | instid1(VALU_DEP_1)
	v_mul_u32_u24_e32 v0, 0x227, v0
	v_lshrrev_b32_e32 v0, 16, v0
	s_delay_alu instid0(VALU_DEP_1) | instskip(NEXT) | instid1(VALU_DEP_1)
	v_mul_lo_u16 v0, 0x121, v0
	v_and_b32_e32 v0, 0xffff, v0
	s_waitcnt vmcnt(0)
	s_delay_alu instid0(VALU_DEP_1) | instskip(NEXT) | instid1(VALU_DEP_1)
	v_add_nc_u32_e32 v0, v7, v0
	v_mad_u64_u32 v[7:8], null, s4, v0, 0
	v_add_nc_u32_e32 v11, 0x44, v0
	v_add_nc_u32_e32 v12, 0x55, v0
	;; [unrolled: 1-line block ×4, first 2 shown]
	v_mad_u64_u32 v[9:10], null, s5, v0, v[8:9]
	v_add_nc_u32_e32 v10, 51, v0
	s_delay_alu instid0(VALU_DEP_2) | instskip(NEXT) | instid1(VALU_DEP_1)
	v_dual_mov_b32 v8, v9 :: v_dual_add_nc_u32 v9, 17, v0
	v_lshlrev_b64 v[5:6], 4, v[7:8]
	s_delay_alu instid0(VALU_DEP_1) | instskip(NEXT) | instid1(VALU_DEP_2)
	v_add_co_u32 v5, vcc_lo, v21, v5
	v_add_co_ci_u32_e32 v6, vcc_lo, v22, v6, vcc_lo
	global_store_b128 v[5:6], v[17:20], off
	v_mad_u64_u32 v[5:6], null, s4, v9, 0
	v_add_nc_u32_e32 v18, 0x88, v0
	v_add_nc_u32_e32 v19, 0x99, v0
	;; [unrolled: 1-line block ×3, first 2 shown]
	s_delay_alu instid0(VALU_DEP_4) | instskip(NEXT) | instid1(VALU_DEP_1)
	v_mad_u64_u32 v[7:8], null, s5, v9, v[6:7]
	v_dual_mov_b32 v6, v7 :: v_dual_add_nc_u32 v9, 34, v0
	s_delay_alu instid0(VALU_DEP_1) | instskip(NEXT) | instid1(VALU_DEP_1)
	v_lshlrev_b64 v[5:6], 4, v[5:6]
	v_add_co_u32 v5, vcc_lo, v21, v5
	s_delay_alu instid0(VALU_DEP_2) | instskip(SKIP_2) | instid1(VALU_DEP_1)
	v_add_co_ci_u32_e32 v6, vcc_lo, v22, v6, vcc_lo
	global_store_b128 v[5:6], v[118:121], off
	v_mad_u64_u32 v[5:6], null, s4, v9, 0
	v_mad_u64_u32 v[7:8], null, s5, v9, v[6:7]
	s_delay_alu instid0(VALU_DEP_1) | instskip(SKIP_1) | instid1(VALU_DEP_2)
	v_mov_b32_e32 v6, v7
	v_mad_u64_u32 v[7:8], null, s4, v10, 0
	v_lshlrev_b64 v[5:6], 4, v[5:6]
	s_delay_alu instid0(VALU_DEP_1) | instskip(NEXT) | instid1(VALU_DEP_2)
	v_add_co_u32 v5, vcc_lo, v21, v5
	v_add_co_ci_u32_e32 v6, vcc_lo, v22, v6, vcc_lo
	global_store_b128 v[5:6], v[122:125], off
	v_mov_b32_e32 v5, v8
	s_delay_alu instid0(VALU_DEP_1) | instskip(SKIP_1) | instid1(VALU_DEP_2)
	v_mad_u64_u32 v[8:9], null, s5, v10, v[5:6]
	v_mad_u64_u32 v[5:6], null, s4, v11, 0
	v_lshlrev_b64 v[7:8], 4, v[7:8]
	s_delay_alu instid0(VALU_DEP_1) | instskip(NEXT) | instid1(VALU_DEP_2)
	v_add_co_u32 v7, vcc_lo, v21, v7
	v_add_co_ci_u32_e32 v8, vcc_lo, v22, v8, vcc_lo
	s_delay_alu instid0(VALU_DEP_2) | instskip(SKIP_3) | instid1(VALU_DEP_1)
	v_mad_u64_u32 v[9:10], null, s5, v11, v[6:7]
	v_mad_u64_u32 v[10:11], null, s4, v12, 0
	global_store_b128 v[7:8], v[234:237], off
	v_dual_mov_b32 v6, v9 :: v_dual_mov_b32 v7, v11
	v_lshlrev_b64 v[5:6], 4, v[5:6]
	s_delay_alu instid0(VALU_DEP_2) | instskip(SKIP_1) | instid1(VALU_DEP_3)
	v_mad_u64_u32 v[8:9], null, s5, v12, v[7:8]
	v_mad_u64_u32 v[12:13], null, s4, v14, 0
	v_add_co_u32 v5, vcc_lo, v21, v5
	s_delay_alu instid0(VALU_DEP_4) | instskip(NEXT) | instid1(VALU_DEP_4)
	v_add_co_ci_u32_e32 v6, vcc_lo, v22, v6, vcc_lo
	v_mov_b32_e32 v11, v8
	s_delay_alu instid0(VALU_DEP_4) | instskip(NEXT) | instid1(VALU_DEP_2)
	v_mov_b32_e32 v7, v13
	v_lshlrev_b64 v[8:9], 4, v[10:11]
	s_delay_alu instid0(VALU_DEP_1) | instskip(SKIP_2) | instid1(VALU_DEP_4)
	v_mad_u64_u32 v[10:11], null, s5, v14, v[7:8]
	v_mad_u64_u32 v[14:15], null, s4, v16, 0
	v_add_co_u32 v7, vcc_lo, v21, v8
	v_add_co_ci_u32_e32 v8, vcc_lo, v22, v9, vcc_lo
	s_delay_alu instid0(VALU_DEP_4)
	v_mov_b32_e32 v13, v10
	s_clause 0x1
	global_store_b128 v[5:6], v[194:197], off
	global_store_b128 v[7:8], v[198:201], off
	v_mov_b32_e32 v5, v15
	v_lshlrev_b64 v[6:7], 4, v[12:13]
	v_mad_u64_u32 v[11:12], null, s4, v19, 0
	s_delay_alu instid0(VALU_DEP_2) | instskip(SKIP_3) | instid1(VALU_DEP_4)
	v_mad_u64_u32 v[8:9], null, s5, v16, v[5:6]
	v_mad_u64_u32 v[9:10], null, s4, v18, 0
	v_add_co_u32 v5, vcc_lo, v21, v6
	v_add_co_ci_u32_e32 v6, vcc_lo, v22, v7, vcc_lo
	v_mov_b32_e32 v15, v8
	v_mad_u64_u32 v[16:17], null, s4, v20, 0
	v_mov_b32_e32 v7, v10
	global_store_b128 v[5:6], v[61:64], off
	v_mov_b32_e32 v5, v12
	v_lshlrev_b64 v[12:13], 4, v[14:15]
	v_mad_u64_u32 v[14:15], null, s5, v18, v[7:8]
	s_delay_alu instid0(VALU_DEP_3) | instskip(SKIP_1) | instid1(VALU_DEP_4)
	v_mad_u64_u32 v[6:7], null, s5, v19, v[5:6]
	v_mov_b32_e32 v5, v17
	v_add_co_u32 v7, vcc_lo, v21, v12
	v_add_co_ci_u32_e32 v8, vcc_lo, v22, v13, vcc_lo
	v_mov_b32_e32 v10, v14
	v_mov_b32_e32 v12, v6
	v_mad_u64_u32 v[13:14], null, s5, v20, v[5:6]
	v_add_nc_u32_e32 v15, 0xbb, v0
	s_delay_alu instid0(VALU_DEP_4) | instskip(NEXT) | instid1(VALU_DEP_4)
	v_lshlrev_b64 v[5:6], 4, v[9:10]
	v_lshlrev_b64 v[9:10], 4, v[11:12]
	global_store_b128 v[7:8], v[53:56], off
	v_mad_u64_u32 v[7:8], null, s4, v15, 0
	v_add_co_u32 v5, vcc_lo, v21, v5
	v_add_co_ci_u32_e32 v6, vcc_lo, v22, v6, vcc_lo
	v_add_co_u32 v9, vcc_lo, v21, v9
	v_mov_b32_e32 v17, v13
	v_add_co_ci_u32_e32 v10, vcc_lo, v22, v10, vcc_lo
	s_delay_alu instid0(VALU_DEP_3) | instskip(NEXT) | instid1(VALU_DEP_3)
	v_mad_u64_u32 v[13:14], null, s5, v15, v[8:9]
	v_lshlrev_b64 v[11:12], 4, v[16:17]
	v_add_nc_u32_e32 v16, 0xcc, v0
	s_delay_alu instid0(VALU_DEP_1) | instskip(NEXT) | instid1(VALU_DEP_3)
	v_mad_u64_u32 v[14:15], null, s4, v16, 0
	v_add_co_u32 v11, vcc_lo, v21, v11
	v_mov_b32_e32 v8, v13
	v_add_co_ci_u32_e32 v12, vcc_lo, v22, v12, vcc_lo
	s_clause 0x2
	global_store_b128 v[5:6], v[1:4], off
	global_store_b128 v[9:10], v[49:52], off
	;; [unrolled: 1-line block ×3, first 2 shown]
	v_lshlrev_b64 v[2:3], 4, v[7:8]
	v_dual_mov_b32 v1, v15 :: v_dual_add_nc_u32 v10, 0xdd, v0
	v_add_nc_u32_e32 v11, 0xee, v0
	v_add_nc_u32_e32 v13, 0xff, v0
	s_delay_alu instid0(VALU_DEP_3)
	v_mad_u64_u32 v[4:5], null, s5, v16, v[1:2]
	scratch_load_b128 v[16:19], off, off offset:84 ; 16-byte Folded Reload
	v_mad_u64_u32 v[5:6], null, s4, v10, 0
	v_add_co_u32 v1, vcc_lo, v21, v2
	v_add_co_ci_u32_e32 v2, vcc_lo, v22, v3, vcc_lo
	v_mov_b32_e32 v15, v4
	v_mad_u64_u32 v[3:4], null, s4, v11, 0
	s_waitcnt vmcnt(0)
	global_store_b128 v[1:2], v[16:19], off
	v_mov_b32_e32 v1, v6
	v_lshlrev_b64 v[6:7], 4, v[14:15]
	scratch_load_b128 v[15:18], off, off offset:68 ; 16-byte Folded Reload
	v_mov_b32_e32 v2, v4
	v_add_nc_u32_e32 v14, 0x110, v0
	s_delay_alu instid0(VALU_DEP_2)
	v_mad_u64_u32 v[8:9], null, s5, v10, v[1:2]
	v_mad_u64_u32 v[9:10], null, s5, v11, v[2:3]
	;; [unrolled: 1-line block ×3, first 2 shown]
	v_add_co_u32 v1, vcc_lo, v21, v6
	v_add_co_ci_u32_e32 v2, vcc_lo, v22, v7, vcc_lo
	v_mov_b32_e32 v6, v8
	v_mad_u64_u32 v[7:8], null, s4, v14, 0
	v_mov_b32_e32 v0, v11
	v_mov_b32_e32 v4, v9
	s_delay_alu instid0(VALU_DEP_2) | instskip(NEXT) | instid1(VALU_DEP_4)
	v_mad_u64_u32 v[11:12], null, s5, v13, v[0:1]
	v_mov_b32_e32 v0, v8
	s_delay_alu instid0(VALU_DEP_3) | instskip(NEXT) | instid1(VALU_DEP_3)
	v_lshlrev_b64 v[3:4], 4, v[3:4]
	v_lshlrev_b64 v[9:10], 4, v[10:11]
	s_waitcnt vmcnt(0)
	global_store_b128 v[1:2], v[15:18], off
	v_lshlrev_b64 v[1:2], 4, v[5:6]
	s_delay_alu instid0(VALU_DEP_1) | instskip(SKIP_1) | instid1(VALU_DEP_3)
	v_mad_u64_u32 v[5:6], null, s5, v14, v[0:1]
	v_add_co_u32 v0, vcc_lo, v21, v1
	v_add_co_ci_u32_e32 v1, vcc_lo, v22, v2, vcc_lo
	v_add_co_u32 v2, vcc_lo, v21, v3
	s_delay_alu instid0(VALU_DEP_4) | instskip(SKIP_2) | instid1(VALU_DEP_3)
	v_mov_b32_e32 v8, v5
	v_add_co_ci_u32_e32 v3, vcc_lo, v22, v4, vcc_lo
	v_add_co_u32 v6, vcc_lo, v21, v9
	v_lshlrev_b64 v[4:5], 4, v[7:8]
	v_add_co_ci_u32_e32 v7, vcc_lo, v22, v10, vcc_lo
	scratch_load_b128 v[8:11], off, off offset:52 ; 16-byte Folded Reload
	v_add_co_u32 v4, vcc_lo, v21, v4
	v_add_co_ci_u32_e32 v5, vcc_lo, v22, v5, vcc_lo
	s_waitcnt vmcnt(0)
	global_store_b128 v[0:1], v[8:11], off
	scratch_load_b128 v[8:11], off, off offset:36 ; 16-byte Folded Reload
	s_waitcnt vmcnt(0)
	global_store_b128 v[2:3], v[8:11], off
	scratch_load_b128 v[0:3], off, off offset:20 ; 16-byte Folded Reload
	;; [unrolled: 3-line block ×3, first 2 shown]
	s_waitcnt vmcnt(0)
	global_store_b128 v[4:5], v[0:3], off
.LBB0_48:
	s_endpgm
	.section	.rodata,"a",@progbits
	.p2align	6, 0x0
	.amdhsa_kernel fft_rtc_fwd_len289_factors_17_17_wgs_119_tpt_17_dp_op_CI_CI_sbcc_twdbase8_3step_dirReg_intrinsicRead
		.amdhsa_group_segment_fixed_size 0
		.amdhsa_private_segment_fixed_size 728
		.amdhsa_kernarg_size 112
		.amdhsa_user_sgpr_count 15
		.amdhsa_user_sgpr_dispatch_ptr 0
		.amdhsa_user_sgpr_queue_ptr 0
		.amdhsa_user_sgpr_kernarg_segment_ptr 1
		.amdhsa_user_sgpr_dispatch_id 0
		.amdhsa_user_sgpr_private_segment_size 0
		.amdhsa_wavefront_size32 1
		.amdhsa_uses_dynamic_stack 0
		.amdhsa_enable_private_segment 1
		.amdhsa_system_sgpr_workgroup_id_x 1
		.amdhsa_system_sgpr_workgroup_id_y 0
		.amdhsa_system_sgpr_workgroup_id_z 0
		.amdhsa_system_sgpr_workgroup_info 0
		.amdhsa_system_vgpr_workitem_id 0
		.amdhsa_next_free_vgpr 256
		.amdhsa_next_free_sgpr 66
		.amdhsa_reserve_vcc 1
		.amdhsa_float_round_mode_32 0
		.amdhsa_float_round_mode_16_64 0
		.amdhsa_float_denorm_mode_32 3
		.amdhsa_float_denorm_mode_16_64 3
		.amdhsa_dx10_clamp 1
		.amdhsa_ieee_mode 1
		.amdhsa_fp16_overflow 0
		.amdhsa_workgroup_processor_mode 1
		.amdhsa_memory_ordered 1
		.amdhsa_forward_progress 0
		.amdhsa_shared_vgpr_count 0
		.amdhsa_exception_fp_ieee_invalid_op 0
		.amdhsa_exception_fp_denorm_src 0
		.amdhsa_exception_fp_ieee_div_zero 0
		.amdhsa_exception_fp_ieee_overflow 0
		.amdhsa_exception_fp_ieee_underflow 0
		.amdhsa_exception_fp_ieee_inexact 0
		.amdhsa_exception_int_div_zero 0
	.end_amdhsa_kernel
	.text
.Lfunc_end0:
	.size	fft_rtc_fwd_len289_factors_17_17_wgs_119_tpt_17_dp_op_CI_CI_sbcc_twdbase8_3step_dirReg_intrinsicRead, .Lfunc_end0-fft_rtc_fwd_len289_factors_17_17_wgs_119_tpt_17_dp_op_CI_CI_sbcc_twdbase8_3step_dirReg_intrinsicRead
                                        ; -- End function
	.section	.AMDGPU.csdata,"",@progbits
; Kernel info:
; codeLenInByte = 24428
; NumSgprs: 68
; NumVgprs: 256
; ScratchSize: 728
; MemoryBound: 0
; FloatMode: 240
; IeeeMode: 1
; LDSByteSize: 0 bytes/workgroup (compile time only)
; SGPRBlocks: 8
; VGPRBlocks: 31
; NumSGPRsForWavesPerEU: 68
; NumVGPRsForWavesPerEU: 256
; Occupancy: 5
; WaveLimiterHint : 1
; COMPUTE_PGM_RSRC2:SCRATCH_EN: 1
; COMPUTE_PGM_RSRC2:USER_SGPR: 15
; COMPUTE_PGM_RSRC2:TRAP_HANDLER: 0
; COMPUTE_PGM_RSRC2:TGID_X_EN: 1
; COMPUTE_PGM_RSRC2:TGID_Y_EN: 0
; COMPUTE_PGM_RSRC2:TGID_Z_EN: 0
; COMPUTE_PGM_RSRC2:TIDIG_COMP_CNT: 0
	.text
	.p2alignl 7, 3214868480
	.fill 96, 4, 3214868480
	.type	__hip_cuid_b1cdad05056e213d,@object ; @__hip_cuid_b1cdad05056e213d
	.section	.bss,"aw",@nobits
	.globl	__hip_cuid_b1cdad05056e213d
__hip_cuid_b1cdad05056e213d:
	.byte	0                               ; 0x0
	.size	__hip_cuid_b1cdad05056e213d, 1

	.ident	"AMD clang version 19.0.0git (https://github.com/RadeonOpenCompute/llvm-project roc-6.4.0 25133 c7fe45cf4b819c5991fe208aaa96edf142730f1d)"
	.section	".note.GNU-stack","",@progbits
	.addrsig
	.addrsig_sym __hip_cuid_b1cdad05056e213d
	.amdgpu_metadata
---
amdhsa.kernels:
  - .args:
      - .actual_access:  read_only
        .address_space:  global
        .offset:         0
        .size:           8
        .value_kind:     global_buffer
      - .address_space:  global
        .offset:         8
        .size:           8
        .value_kind:     global_buffer
      - .offset:         16
        .size:           8
        .value_kind:     by_value
      - .actual_access:  read_only
        .address_space:  global
        .offset:         24
        .size:           8
        .value_kind:     global_buffer
      - .actual_access:  read_only
        .address_space:  global
        .offset:         32
        .size:           8
        .value_kind:     global_buffer
      - .actual_access:  read_only
        .address_space:  global
        .offset:         40
        .size:           8
        .value_kind:     global_buffer
      - .offset:         48
        .size:           8
        .value_kind:     by_value
      - .actual_access:  read_only
        .address_space:  global
        .offset:         56
        .size:           8
        .value_kind:     global_buffer
      - .actual_access:  read_only
        .address_space:  global
        .offset:         64
        .size:           8
        .value_kind:     global_buffer
      - .offset:         72
        .size:           4
        .value_kind:     by_value
      - .actual_access:  read_only
        .address_space:  global
        .offset:         80
        .size:           8
        .value_kind:     global_buffer
      - .actual_access:  read_only
        .address_space:  global
        .offset:         88
        .size:           8
        .value_kind:     global_buffer
      - .actual_access:  read_only
        .address_space:  global
        .offset:         96
        .size:           8
        .value_kind:     global_buffer
      - .actual_access:  write_only
        .address_space:  global
        .offset:         104
        .size:           8
        .value_kind:     global_buffer
    .group_segment_fixed_size: 0
    .kernarg_segment_align: 8
    .kernarg_segment_size: 112
    .language:       OpenCL C
    .language_version:
      - 2
      - 0
    .max_flat_workgroup_size: 119
    .name:           fft_rtc_fwd_len289_factors_17_17_wgs_119_tpt_17_dp_op_CI_CI_sbcc_twdbase8_3step_dirReg_intrinsicRead
    .private_segment_fixed_size: 728
    .sgpr_count:     68
    .sgpr_spill_count: 0
    .symbol:         fft_rtc_fwd_len289_factors_17_17_wgs_119_tpt_17_dp_op_CI_CI_sbcc_twdbase8_3step_dirReg_intrinsicRead.kd
    .uniform_work_group_size: 1
    .uses_dynamic_stack: false
    .vgpr_count:     256
    .vgpr_spill_count: 221
    .wavefront_size: 32
    .workgroup_processor_mode: 1
amdhsa.target:   amdgcn-amd-amdhsa--gfx1100
amdhsa.version:
  - 1
  - 2
...

	.end_amdgpu_metadata
